;; amdgpu-corpus repo=ROCm/composable_kernel kind=compiled arch=gfx1201 opt=O3
	.amdgcn_target "amdgcn-amd-amdhsa--gfx1201"
	.amdhsa_code_object_version 6
	.section	.text._ZN2ckL12flush_icacheEv,"axG",@progbits,_ZN2ckL12flush_icacheEv,comdat
	.globl	_ZN2ckL12flush_icacheEv         ; -- Begin function _ZN2ckL12flush_icacheEv
	.p2align	8
	.type	_ZN2ckL12flush_icacheEv,@function
_ZN2ckL12flush_icacheEv:                ; @_ZN2ckL12flush_icacheEv
; %bb.0:
	;;#ASMSTART
	s_icache_inv 
	s_nop 0 
	s_nop 0 
	;; [unrolled: 1-line block ×16, first 2 shown]
	
	;;#ASMEND
	s_endpgm
	.section	.rodata,"a",@progbits
	.p2align	6, 0x0
	.amdhsa_kernel _ZN2ckL12flush_icacheEv
		.amdhsa_group_segment_fixed_size 0
		.amdhsa_private_segment_fixed_size 0
		.amdhsa_kernarg_size 0
		.amdhsa_user_sgpr_count 0
		.amdhsa_user_sgpr_dispatch_ptr 0
		.amdhsa_user_sgpr_queue_ptr 0
		.amdhsa_user_sgpr_kernarg_segment_ptr 0
		.amdhsa_user_sgpr_dispatch_id 0
		.amdhsa_user_sgpr_private_segment_size 0
		.amdhsa_wavefront_size32 1
		.amdhsa_uses_dynamic_stack 0
		.amdhsa_enable_private_segment 0
		.amdhsa_system_sgpr_workgroup_id_x 1
		.amdhsa_system_sgpr_workgroup_id_y 0
		.amdhsa_system_sgpr_workgroup_id_z 0
		.amdhsa_system_sgpr_workgroup_info 0
		.amdhsa_system_vgpr_workitem_id 0
		.amdhsa_next_free_vgpr 1
		.amdhsa_next_free_sgpr 1
		.amdhsa_reserve_vcc 0
		.amdhsa_float_round_mode_32 0
		.amdhsa_float_round_mode_16_64 0
		.amdhsa_float_denorm_mode_32 3
		.amdhsa_float_denorm_mode_16_64 3
		.amdhsa_fp16_overflow 0
		.amdhsa_workgroup_processor_mode 1
		.amdhsa_memory_ordered 1
		.amdhsa_forward_progress 1
		.amdhsa_inst_pref_size 1
		.amdhsa_round_robin_scheduling 0
		.amdhsa_exception_fp_ieee_invalid_op 0
		.amdhsa_exception_fp_denorm_src 0
		.amdhsa_exception_fp_ieee_div_zero 0
		.amdhsa_exception_fp_ieee_overflow 0
		.amdhsa_exception_fp_ieee_underflow 0
		.amdhsa_exception_fp_ieee_inexact 0
		.amdhsa_exception_int_div_zero 0
	.end_amdhsa_kernel
	.section	.text._ZN2ckL12flush_icacheEv,"axG",@progbits,_ZN2ckL12flush_icacheEv,comdat
.Lfunc_end0:
	.size	_ZN2ckL12flush_icacheEv, .Lfunc_end0-_ZN2ckL12flush_icacheEv
                                        ; -- End function
	.set _ZN2ckL12flush_icacheEv.num_vgpr, 0
	.set _ZN2ckL12flush_icacheEv.num_agpr, 0
	.set _ZN2ckL12flush_icacheEv.numbered_sgpr, 0
	.set _ZN2ckL12flush_icacheEv.num_named_barrier, 0
	.set _ZN2ckL12flush_icacheEv.private_seg_size, 0
	.set _ZN2ckL12flush_icacheEv.uses_vcc, 0
	.set _ZN2ckL12flush_icacheEv.uses_flat_scratch, 0
	.set _ZN2ckL12flush_icacheEv.has_dyn_sized_stack, 0
	.set _ZN2ckL12flush_icacheEv.has_recursion, 0
	.set _ZN2ckL12flush_icacheEv.has_indirect_call, 0
	.section	.AMDGPU.csdata,"",@progbits
; Kernel info:
; codeLenInByte = 4
; TotalNumSgprs: 0
; NumVgprs: 0
; ScratchSize: 0
; MemoryBound: 0
; FloatMode: 240
; IeeeMode: 1
; LDSByteSize: 0 bytes/workgroup (compile time only)
; SGPRBlocks: 0
; VGPRBlocks: 0
; NumSGPRsForWavesPerEU: 1
; NumVGPRsForWavesPerEU: 1
; Occupancy: 16
; WaveLimiterHint : 0
; COMPUTE_PGM_RSRC2:SCRATCH_EN: 0
; COMPUTE_PGM_RSRC2:USER_SGPR: 0
; COMPUTE_PGM_RSRC2:TRAP_HANDLER: 0
; COMPUTE_PGM_RSRC2:TGID_X_EN: 1
; COMPUTE_PGM_RSRC2:TGID_Y_EN: 0
; COMPUTE_PGM_RSRC2:TGID_Z_EN: 0
; COMPUTE_PGM_RSRC2:TIDIG_COMP_CNT: 0
	.section	.text._ZN2ck27kernel_gemm_xdl_cshuffle_v3INS_28GridwiseGemm_xdl_cshuffle_v3INS_13tensor_layout4gemm8RowMajorENS3_11ColumnMajorES4_NS_9f8_fnuz_tENS_7pk_i4_tEfDF16_DF16_NS_16tensor_operation12element_wise11PassThroughESA_SA_LNS8_6device18GemmSpecializationE0ELi256ELi128ELi128ELi128ELi16ELi16ELi16ELi16ELi4ELi4ENS_8SequenceIJLi8ELi32ELi1EEEENSD_IJLi1ELi0ELi2EEEESF_Li2ELi16ELi16ELb0ELi0ENSD_IJLi4ELi64ELi1EEEESF_SF_Li2ELi16ELi16ELb0ELi0ELi1ELi1ENSD_IJLi1ELi32ELi1ELi8EEEELi4ELNS_26BlockGemmPipelineSchedulerE1ELNS_24BlockGemmPipelineVersionE1ES6_S6_Lb0ELb1ELb0ELi0ELb0EEELb1ELNS_25InMemoryDataOperationEnumE1ELi2ELNS_10TailNumberE2EEEvNT_8ArgumentE,"axG",@progbits,_ZN2ck27kernel_gemm_xdl_cshuffle_v3INS_28GridwiseGemm_xdl_cshuffle_v3INS_13tensor_layout4gemm8RowMajorENS3_11ColumnMajorES4_NS_9f8_fnuz_tENS_7pk_i4_tEfDF16_DF16_NS_16tensor_operation12element_wise11PassThroughESA_SA_LNS8_6device18GemmSpecializationE0ELi256ELi128ELi128ELi128ELi16ELi16ELi16ELi16ELi4ELi4ENS_8SequenceIJLi8ELi32ELi1EEEENSD_IJLi1ELi0ELi2EEEESF_Li2ELi16ELi16ELb0ELi0ENSD_IJLi4ELi64ELi1EEEESF_SF_Li2ELi16ELi16ELb0ELi0ELi1ELi1ENSD_IJLi1ELi32ELi1ELi8EEEELi4ELNS_26BlockGemmPipelineSchedulerE1ELNS_24BlockGemmPipelineVersionE1ES6_S6_Lb0ELb1ELb0ELi0ELb0EEELb1ELNS_25InMemoryDataOperationEnumE1ELi2ELNS_10TailNumberE2EEEvNT_8ArgumentE,comdat
	.protected	_ZN2ck27kernel_gemm_xdl_cshuffle_v3INS_28GridwiseGemm_xdl_cshuffle_v3INS_13tensor_layout4gemm8RowMajorENS3_11ColumnMajorES4_NS_9f8_fnuz_tENS_7pk_i4_tEfDF16_DF16_NS_16tensor_operation12element_wise11PassThroughESA_SA_LNS8_6device18GemmSpecializationE0ELi256ELi128ELi128ELi128ELi16ELi16ELi16ELi16ELi4ELi4ENS_8SequenceIJLi8ELi32ELi1EEEENSD_IJLi1ELi0ELi2EEEESF_Li2ELi16ELi16ELb0ELi0ENSD_IJLi4ELi64ELi1EEEESF_SF_Li2ELi16ELi16ELb0ELi0ELi1ELi1ENSD_IJLi1ELi32ELi1ELi8EEEELi4ELNS_26BlockGemmPipelineSchedulerE1ELNS_24BlockGemmPipelineVersionE1ES6_S6_Lb0ELb1ELb0ELi0ELb0EEELb1ELNS_25InMemoryDataOperationEnumE1ELi2ELNS_10TailNumberE2EEEvNT_8ArgumentE ; -- Begin function _ZN2ck27kernel_gemm_xdl_cshuffle_v3INS_28GridwiseGemm_xdl_cshuffle_v3INS_13tensor_layout4gemm8RowMajorENS3_11ColumnMajorES4_NS_9f8_fnuz_tENS_7pk_i4_tEfDF16_DF16_NS_16tensor_operation12element_wise11PassThroughESA_SA_LNS8_6device18GemmSpecializationE0ELi256ELi128ELi128ELi128ELi16ELi16ELi16ELi16ELi4ELi4ENS_8SequenceIJLi8ELi32ELi1EEEENSD_IJLi1ELi0ELi2EEEESF_Li2ELi16ELi16ELb0ELi0ENSD_IJLi4ELi64ELi1EEEESF_SF_Li2ELi16ELi16ELb0ELi0ELi1ELi1ENSD_IJLi1ELi32ELi1ELi8EEEELi4ELNS_26BlockGemmPipelineSchedulerE1ELNS_24BlockGemmPipelineVersionE1ES6_S6_Lb0ELb1ELb0ELi0ELb0EEELb1ELNS_25InMemoryDataOperationEnumE1ELi2ELNS_10TailNumberE2EEEvNT_8ArgumentE
	.globl	_ZN2ck27kernel_gemm_xdl_cshuffle_v3INS_28GridwiseGemm_xdl_cshuffle_v3INS_13tensor_layout4gemm8RowMajorENS3_11ColumnMajorES4_NS_9f8_fnuz_tENS_7pk_i4_tEfDF16_DF16_NS_16tensor_operation12element_wise11PassThroughESA_SA_LNS8_6device18GemmSpecializationE0ELi256ELi128ELi128ELi128ELi16ELi16ELi16ELi16ELi4ELi4ENS_8SequenceIJLi8ELi32ELi1EEEENSD_IJLi1ELi0ELi2EEEESF_Li2ELi16ELi16ELb0ELi0ENSD_IJLi4ELi64ELi1EEEESF_SF_Li2ELi16ELi16ELb0ELi0ELi1ELi1ENSD_IJLi1ELi32ELi1ELi8EEEELi4ELNS_26BlockGemmPipelineSchedulerE1ELNS_24BlockGemmPipelineVersionE1ES6_S6_Lb0ELb1ELb0ELi0ELb0EEELb1ELNS_25InMemoryDataOperationEnumE1ELi2ELNS_10TailNumberE2EEEvNT_8ArgumentE
	.p2align	8
	.type	_ZN2ck27kernel_gemm_xdl_cshuffle_v3INS_28GridwiseGemm_xdl_cshuffle_v3INS_13tensor_layout4gemm8RowMajorENS3_11ColumnMajorES4_NS_9f8_fnuz_tENS_7pk_i4_tEfDF16_DF16_NS_16tensor_operation12element_wise11PassThroughESA_SA_LNS8_6device18GemmSpecializationE0ELi256ELi128ELi128ELi128ELi16ELi16ELi16ELi16ELi4ELi4ENS_8SequenceIJLi8ELi32ELi1EEEENSD_IJLi1ELi0ELi2EEEESF_Li2ELi16ELi16ELb0ELi0ENSD_IJLi4ELi64ELi1EEEESF_SF_Li2ELi16ELi16ELb0ELi0ELi1ELi1ENSD_IJLi1ELi32ELi1ELi8EEEELi4ELNS_26BlockGemmPipelineSchedulerE1ELNS_24BlockGemmPipelineVersionE1ES6_S6_Lb0ELb1ELb0ELi0ELb0EEELb1ELNS_25InMemoryDataOperationEnumE1ELi2ELNS_10TailNumberE2EEEvNT_8ArgumentE,@function
_ZN2ck27kernel_gemm_xdl_cshuffle_v3INS_28GridwiseGemm_xdl_cshuffle_v3INS_13tensor_layout4gemm8RowMajorENS3_11ColumnMajorES4_NS_9f8_fnuz_tENS_7pk_i4_tEfDF16_DF16_NS_16tensor_operation12element_wise11PassThroughESA_SA_LNS8_6device18GemmSpecializationE0ELi256ELi128ELi128ELi128ELi16ELi16ELi16ELi16ELi4ELi4ENS_8SequenceIJLi8ELi32ELi1EEEENSD_IJLi1ELi0ELi2EEEESF_Li2ELi16ELi16ELb0ELi0ENSD_IJLi4ELi64ELi1EEEESF_SF_Li2ELi16ELi16ELb0ELi0ELi1ELi1ENSD_IJLi1ELi32ELi1ELi8EEEELi4ELNS_26BlockGemmPipelineSchedulerE1ELNS_24BlockGemmPipelineVersionE1ES6_S6_Lb0ELb1ELb0ELi0ELb0EEELb1ELNS_25InMemoryDataOperationEnumE1ELi2ELNS_10TailNumberE2EEEvNT_8ArgumentE: ; @_ZN2ck27kernel_gemm_xdl_cshuffle_v3INS_28GridwiseGemm_xdl_cshuffle_v3INS_13tensor_layout4gemm8RowMajorENS3_11ColumnMajorES4_NS_9f8_fnuz_tENS_7pk_i4_tEfDF16_DF16_NS_16tensor_operation12element_wise11PassThroughESA_SA_LNS8_6device18GemmSpecializationE0ELi256ELi128ELi128ELi128ELi16ELi16ELi16ELi16ELi4ELi4ENS_8SequenceIJLi8ELi32ELi1EEEENSD_IJLi1ELi0ELi2EEEESF_Li2ELi16ELi16ELb0ELi0ENSD_IJLi4ELi64ELi1EEEESF_SF_Li2ELi16ELi16ELb0ELi0ELi1ELi1ENSD_IJLi1ELi32ELi1ELi8EEEELi4ELNS_26BlockGemmPipelineSchedulerE1ELNS_24BlockGemmPipelineVersionE1ES6_S6_Lb0ELb1ELb0ELi0ELb0EEELb1ELNS_25InMemoryDataOperationEnumE1ELi2ELNS_10TailNumberE2EEEvNT_8ArgumentE
; %bb.0:
	s_endpgm
	.section	.rodata,"a",@progbits
	.p2align	6, 0x0
	.amdhsa_kernel _ZN2ck27kernel_gemm_xdl_cshuffle_v3INS_28GridwiseGemm_xdl_cshuffle_v3INS_13tensor_layout4gemm8RowMajorENS3_11ColumnMajorES4_NS_9f8_fnuz_tENS_7pk_i4_tEfDF16_DF16_NS_16tensor_operation12element_wise11PassThroughESA_SA_LNS8_6device18GemmSpecializationE0ELi256ELi128ELi128ELi128ELi16ELi16ELi16ELi16ELi4ELi4ENS_8SequenceIJLi8ELi32ELi1EEEENSD_IJLi1ELi0ELi2EEEESF_Li2ELi16ELi16ELb0ELi0ENSD_IJLi4ELi64ELi1EEEESF_SF_Li2ELi16ELi16ELb0ELi0ELi1ELi1ENSD_IJLi1ELi32ELi1ELi8EEEELi4ELNS_26BlockGemmPipelineSchedulerE1ELNS_24BlockGemmPipelineVersionE1ES6_S6_Lb0ELb1ELb0ELi0ELb0EEELb1ELNS_25InMemoryDataOperationEnumE1ELi2ELNS_10TailNumberE2EEEvNT_8ArgumentE
		.amdhsa_group_segment_fixed_size 0
		.amdhsa_private_segment_fixed_size 0
		.amdhsa_kernarg_size 112
		.amdhsa_user_sgpr_count 2
		.amdhsa_user_sgpr_dispatch_ptr 0
		.amdhsa_user_sgpr_queue_ptr 0
		.amdhsa_user_sgpr_kernarg_segment_ptr 1
		.amdhsa_user_sgpr_dispatch_id 0
		.amdhsa_user_sgpr_private_segment_size 0
		.amdhsa_wavefront_size32 1
		.amdhsa_uses_dynamic_stack 0
		.amdhsa_enable_private_segment 0
		.amdhsa_system_sgpr_workgroup_id_x 1
		.amdhsa_system_sgpr_workgroup_id_y 0
		.amdhsa_system_sgpr_workgroup_id_z 0
		.amdhsa_system_sgpr_workgroup_info 0
		.amdhsa_system_vgpr_workitem_id 0
		.amdhsa_next_free_vgpr 1
		.amdhsa_next_free_sgpr 1
		.amdhsa_reserve_vcc 0
		.amdhsa_float_round_mode_32 0
		.amdhsa_float_round_mode_16_64 0
		.amdhsa_float_denorm_mode_32 3
		.amdhsa_float_denorm_mode_16_64 3
		.amdhsa_fp16_overflow 0
		.amdhsa_workgroup_processor_mode 1
		.amdhsa_memory_ordered 1
		.amdhsa_forward_progress 1
		.amdhsa_inst_pref_size 1
		.amdhsa_round_robin_scheduling 0
		.amdhsa_exception_fp_ieee_invalid_op 0
		.amdhsa_exception_fp_denorm_src 0
		.amdhsa_exception_fp_ieee_div_zero 0
		.amdhsa_exception_fp_ieee_overflow 0
		.amdhsa_exception_fp_ieee_underflow 0
		.amdhsa_exception_fp_ieee_inexact 0
		.amdhsa_exception_int_div_zero 0
	.end_amdhsa_kernel
	.section	.text._ZN2ck27kernel_gemm_xdl_cshuffle_v3INS_28GridwiseGemm_xdl_cshuffle_v3INS_13tensor_layout4gemm8RowMajorENS3_11ColumnMajorES4_NS_9f8_fnuz_tENS_7pk_i4_tEfDF16_DF16_NS_16tensor_operation12element_wise11PassThroughESA_SA_LNS8_6device18GemmSpecializationE0ELi256ELi128ELi128ELi128ELi16ELi16ELi16ELi16ELi4ELi4ENS_8SequenceIJLi8ELi32ELi1EEEENSD_IJLi1ELi0ELi2EEEESF_Li2ELi16ELi16ELb0ELi0ENSD_IJLi4ELi64ELi1EEEESF_SF_Li2ELi16ELi16ELb0ELi0ELi1ELi1ENSD_IJLi1ELi32ELi1ELi8EEEELi4ELNS_26BlockGemmPipelineSchedulerE1ELNS_24BlockGemmPipelineVersionE1ES6_S6_Lb0ELb1ELb0ELi0ELb0EEELb1ELNS_25InMemoryDataOperationEnumE1ELi2ELNS_10TailNumberE2EEEvNT_8ArgumentE,"axG",@progbits,_ZN2ck27kernel_gemm_xdl_cshuffle_v3INS_28GridwiseGemm_xdl_cshuffle_v3INS_13tensor_layout4gemm8RowMajorENS3_11ColumnMajorES4_NS_9f8_fnuz_tENS_7pk_i4_tEfDF16_DF16_NS_16tensor_operation12element_wise11PassThroughESA_SA_LNS8_6device18GemmSpecializationE0ELi256ELi128ELi128ELi128ELi16ELi16ELi16ELi16ELi4ELi4ENS_8SequenceIJLi8ELi32ELi1EEEENSD_IJLi1ELi0ELi2EEEESF_Li2ELi16ELi16ELb0ELi0ENSD_IJLi4ELi64ELi1EEEESF_SF_Li2ELi16ELi16ELb0ELi0ELi1ELi1ENSD_IJLi1ELi32ELi1ELi8EEEELi4ELNS_26BlockGemmPipelineSchedulerE1ELNS_24BlockGemmPipelineVersionE1ES6_S6_Lb0ELb1ELb0ELi0ELb0EEELb1ELNS_25InMemoryDataOperationEnumE1ELi2ELNS_10TailNumberE2EEEvNT_8ArgumentE,comdat
.Lfunc_end1:
	.size	_ZN2ck27kernel_gemm_xdl_cshuffle_v3INS_28GridwiseGemm_xdl_cshuffle_v3INS_13tensor_layout4gemm8RowMajorENS3_11ColumnMajorES4_NS_9f8_fnuz_tENS_7pk_i4_tEfDF16_DF16_NS_16tensor_operation12element_wise11PassThroughESA_SA_LNS8_6device18GemmSpecializationE0ELi256ELi128ELi128ELi128ELi16ELi16ELi16ELi16ELi4ELi4ENS_8SequenceIJLi8ELi32ELi1EEEENSD_IJLi1ELi0ELi2EEEESF_Li2ELi16ELi16ELb0ELi0ENSD_IJLi4ELi64ELi1EEEESF_SF_Li2ELi16ELi16ELb0ELi0ELi1ELi1ENSD_IJLi1ELi32ELi1ELi8EEEELi4ELNS_26BlockGemmPipelineSchedulerE1ELNS_24BlockGemmPipelineVersionE1ES6_S6_Lb0ELb1ELb0ELi0ELb0EEELb1ELNS_25InMemoryDataOperationEnumE1ELi2ELNS_10TailNumberE2EEEvNT_8ArgumentE, .Lfunc_end1-_ZN2ck27kernel_gemm_xdl_cshuffle_v3INS_28GridwiseGemm_xdl_cshuffle_v3INS_13tensor_layout4gemm8RowMajorENS3_11ColumnMajorES4_NS_9f8_fnuz_tENS_7pk_i4_tEfDF16_DF16_NS_16tensor_operation12element_wise11PassThroughESA_SA_LNS8_6device18GemmSpecializationE0ELi256ELi128ELi128ELi128ELi16ELi16ELi16ELi16ELi4ELi4ENS_8SequenceIJLi8ELi32ELi1EEEENSD_IJLi1ELi0ELi2EEEESF_Li2ELi16ELi16ELb0ELi0ENSD_IJLi4ELi64ELi1EEEESF_SF_Li2ELi16ELi16ELb0ELi0ELi1ELi1ENSD_IJLi1ELi32ELi1ELi8EEEELi4ELNS_26BlockGemmPipelineSchedulerE1ELNS_24BlockGemmPipelineVersionE1ES6_S6_Lb0ELb1ELb0ELi0ELb0EEELb1ELNS_25InMemoryDataOperationEnumE1ELi2ELNS_10TailNumberE2EEEvNT_8ArgumentE
                                        ; -- End function
	.set _ZN2ck27kernel_gemm_xdl_cshuffle_v3INS_28GridwiseGemm_xdl_cshuffle_v3INS_13tensor_layout4gemm8RowMajorENS3_11ColumnMajorES4_NS_9f8_fnuz_tENS_7pk_i4_tEfDF16_DF16_NS_16tensor_operation12element_wise11PassThroughESA_SA_LNS8_6device18GemmSpecializationE0ELi256ELi128ELi128ELi128ELi16ELi16ELi16ELi16ELi4ELi4ENS_8SequenceIJLi8ELi32ELi1EEEENSD_IJLi1ELi0ELi2EEEESF_Li2ELi16ELi16ELb0ELi0ENSD_IJLi4ELi64ELi1EEEESF_SF_Li2ELi16ELi16ELb0ELi0ELi1ELi1ENSD_IJLi1ELi32ELi1ELi8EEEELi4ELNS_26BlockGemmPipelineSchedulerE1ELNS_24BlockGemmPipelineVersionE1ES6_S6_Lb0ELb1ELb0ELi0ELb0EEELb1ELNS_25InMemoryDataOperationEnumE1ELi2ELNS_10TailNumberE2EEEvNT_8ArgumentE.num_vgpr, 0
	.set _ZN2ck27kernel_gemm_xdl_cshuffle_v3INS_28GridwiseGemm_xdl_cshuffle_v3INS_13tensor_layout4gemm8RowMajorENS3_11ColumnMajorES4_NS_9f8_fnuz_tENS_7pk_i4_tEfDF16_DF16_NS_16tensor_operation12element_wise11PassThroughESA_SA_LNS8_6device18GemmSpecializationE0ELi256ELi128ELi128ELi128ELi16ELi16ELi16ELi16ELi4ELi4ENS_8SequenceIJLi8ELi32ELi1EEEENSD_IJLi1ELi0ELi2EEEESF_Li2ELi16ELi16ELb0ELi0ENSD_IJLi4ELi64ELi1EEEESF_SF_Li2ELi16ELi16ELb0ELi0ELi1ELi1ENSD_IJLi1ELi32ELi1ELi8EEEELi4ELNS_26BlockGemmPipelineSchedulerE1ELNS_24BlockGemmPipelineVersionE1ES6_S6_Lb0ELb1ELb0ELi0ELb0EEELb1ELNS_25InMemoryDataOperationEnumE1ELi2ELNS_10TailNumberE2EEEvNT_8ArgumentE.num_agpr, 0
	.set _ZN2ck27kernel_gemm_xdl_cshuffle_v3INS_28GridwiseGemm_xdl_cshuffle_v3INS_13tensor_layout4gemm8RowMajorENS3_11ColumnMajorES4_NS_9f8_fnuz_tENS_7pk_i4_tEfDF16_DF16_NS_16tensor_operation12element_wise11PassThroughESA_SA_LNS8_6device18GemmSpecializationE0ELi256ELi128ELi128ELi128ELi16ELi16ELi16ELi16ELi4ELi4ENS_8SequenceIJLi8ELi32ELi1EEEENSD_IJLi1ELi0ELi2EEEESF_Li2ELi16ELi16ELb0ELi0ENSD_IJLi4ELi64ELi1EEEESF_SF_Li2ELi16ELi16ELb0ELi0ELi1ELi1ENSD_IJLi1ELi32ELi1ELi8EEEELi4ELNS_26BlockGemmPipelineSchedulerE1ELNS_24BlockGemmPipelineVersionE1ES6_S6_Lb0ELb1ELb0ELi0ELb0EEELb1ELNS_25InMemoryDataOperationEnumE1ELi2ELNS_10TailNumberE2EEEvNT_8ArgumentE.numbered_sgpr, 0
	.set _ZN2ck27kernel_gemm_xdl_cshuffle_v3INS_28GridwiseGemm_xdl_cshuffle_v3INS_13tensor_layout4gemm8RowMajorENS3_11ColumnMajorES4_NS_9f8_fnuz_tENS_7pk_i4_tEfDF16_DF16_NS_16tensor_operation12element_wise11PassThroughESA_SA_LNS8_6device18GemmSpecializationE0ELi256ELi128ELi128ELi128ELi16ELi16ELi16ELi16ELi4ELi4ENS_8SequenceIJLi8ELi32ELi1EEEENSD_IJLi1ELi0ELi2EEEESF_Li2ELi16ELi16ELb0ELi0ENSD_IJLi4ELi64ELi1EEEESF_SF_Li2ELi16ELi16ELb0ELi0ELi1ELi1ENSD_IJLi1ELi32ELi1ELi8EEEELi4ELNS_26BlockGemmPipelineSchedulerE1ELNS_24BlockGemmPipelineVersionE1ES6_S6_Lb0ELb1ELb0ELi0ELb0EEELb1ELNS_25InMemoryDataOperationEnumE1ELi2ELNS_10TailNumberE2EEEvNT_8ArgumentE.num_named_barrier, 0
	.set _ZN2ck27kernel_gemm_xdl_cshuffle_v3INS_28GridwiseGemm_xdl_cshuffle_v3INS_13tensor_layout4gemm8RowMajorENS3_11ColumnMajorES4_NS_9f8_fnuz_tENS_7pk_i4_tEfDF16_DF16_NS_16tensor_operation12element_wise11PassThroughESA_SA_LNS8_6device18GemmSpecializationE0ELi256ELi128ELi128ELi128ELi16ELi16ELi16ELi16ELi4ELi4ENS_8SequenceIJLi8ELi32ELi1EEEENSD_IJLi1ELi0ELi2EEEESF_Li2ELi16ELi16ELb0ELi0ENSD_IJLi4ELi64ELi1EEEESF_SF_Li2ELi16ELi16ELb0ELi0ELi1ELi1ENSD_IJLi1ELi32ELi1ELi8EEEELi4ELNS_26BlockGemmPipelineSchedulerE1ELNS_24BlockGemmPipelineVersionE1ES6_S6_Lb0ELb1ELb0ELi0ELb0EEELb1ELNS_25InMemoryDataOperationEnumE1ELi2ELNS_10TailNumberE2EEEvNT_8ArgumentE.private_seg_size, 0
	.set _ZN2ck27kernel_gemm_xdl_cshuffle_v3INS_28GridwiseGemm_xdl_cshuffle_v3INS_13tensor_layout4gemm8RowMajorENS3_11ColumnMajorES4_NS_9f8_fnuz_tENS_7pk_i4_tEfDF16_DF16_NS_16tensor_operation12element_wise11PassThroughESA_SA_LNS8_6device18GemmSpecializationE0ELi256ELi128ELi128ELi128ELi16ELi16ELi16ELi16ELi4ELi4ENS_8SequenceIJLi8ELi32ELi1EEEENSD_IJLi1ELi0ELi2EEEESF_Li2ELi16ELi16ELb0ELi0ENSD_IJLi4ELi64ELi1EEEESF_SF_Li2ELi16ELi16ELb0ELi0ELi1ELi1ENSD_IJLi1ELi32ELi1ELi8EEEELi4ELNS_26BlockGemmPipelineSchedulerE1ELNS_24BlockGemmPipelineVersionE1ES6_S6_Lb0ELb1ELb0ELi0ELb0EEELb1ELNS_25InMemoryDataOperationEnumE1ELi2ELNS_10TailNumberE2EEEvNT_8ArgumentE.uses_vcc, 0
	.set _ZN2ck27kernel_gemm_xdl_cshuffle_v3INS_28GridwiseGemm_xdl_cshuffle_v3INS_13tensor_layout4gemm8RowMajorENS3_11ColumnMajorES4_NS_9f8_fnuz_tENS_7pk_i4_tEfDF16_DF16_NS_16tensor_operation12element_wise11PassThroughESA_SA_LNS8_6device18GemmSpecializationE0ELi256ELi128ELi128ELi128ELi16ELi16ELi16ELi16ELi4ELi4ENS_8SequenceIJLi8ELi32ELi1EEEENSD_IJLi1ELi0ELi2EEEESF_Li2ELi16ELi16ELb0ELi0ENSD_IJLi4ELi64ELi1EEEESF_SF_Li2ELi16ELi16ELb0ELi0ELi1ELi1ENSD_IJLi1ELi32ELi1ELi8EEEELi4ELNS_26BlockGemmPipelineSchedulerE1ELNS_24BlockGemmPipelineVersionE1ES6_S6_Lb0ELb1ELb0ELi0ELb0EEELb1ELNS_25InMemoryDataOperationEnumE1ELi2ELNS_10TailNumberE2EEEvNT_8ArgumentE.uses_flat_scratch, 0
	.set _ZN2ck27kernel_gemm_xdl_cshuffle_v3INS_28GridwiseGemm_xdl_cshuffle_v3INS_13tensor_layout4gemm8RowMajorENS3_11ColumnMajorES4_NS_9f8_fnuz_tENS_7pk_i4_tEfDF16_DF16_NS_16tensor_operation12element_wise11PassThroughESA_SA_LNS8_6device18GemmSpecializationE0ELi256ELi128ELi128ELi128ELi16ELi16ELi16ELi16ELi4ELi4ENS_8SequenceIJLi8ELi32ELi1EEEENSD_IJLi1ELi0ELi2EEEESF_Li2ELi16ELi16ELb0ELi0ENSD_IJLi4ELi64ELi1EEEESF_SF_Li2ELi16ELi16ELb0ELi0ELi1ELi1ENSD_IJLi1ELi32ELi1ELi8EEEELi4ELNS_26BlockGemmPipelineSchedulerE1ELNS_24BlockGemmPipelineVersionE1ES6_S6_Lb0ELb1ELb0ELi0ELb0EEELb1ELNS_25InMemoryDataOperationEnumE1ELi2ELNS_10TailNumberE2EEEvNT_8ArgumentE.has_dyn_sized_stack, 0
	.set _ZN2ck27kernel_gemm_xdl_cshuffle_v3INS_28GridwiseGemm_xdl_cshuffle_v3INS_13tensor_layout4gemm8RowMajorENS3_11ColumnMajorES4_NS_9f8_fnuz_tENS_7pk_i4_tEfDF16_DF16_NS_16tensor_operation12element_wise11PassThroughESA_SA_LNS8_6device18GemmSpecializationE0ELi256ELi128ELi128ELi128ELi16ELi16ELi16ELi16ELi4ELi4ENS_8SequenceIJLi8ELi32ELi1EEEENSD_IJLi1ELi0ELi2EEEESF_Li2ELi16ELi16ELb0ELi0ENSD_IJLi4ELi64ELi1EEEESF_SF_Li2ELi16ELi16ELb0ELi0ELi1ELi1ENSD_IJLi1ELi32ELi1ELi8EEEELi4ELNS_26BlockGemmPipelineSchedulerE1ELNS_24BlockGemmPipelineVersionE1ES6_S6_Lb0ELb1ELb0ELi0ELb0EEELb1ELNS_25InMemoryDataOperationEnumE1ELi2ELNS_10TailNumberE2EEEvNT_8ArgumentE.has_recursion, 0
	.set _ZN2ck27kernel_gemm_xdl_cshuffle_v3INS_28GridwiseGemm_xdl_cshuffle_v3INS_13tensor_layout4gemm8RowMajorENS3_11ColumnMajorES4_NS_9f8_fnuz_tENS_7pk_i4_tEfDF16_DF16_NS_16tensor_operation12element_wise11PassThroughESA_SA_LNS8_6device18GemmSpecializationE0ELi256ELi128ELi128ELi128ELi16ELi16ELi16ELi16ELi4ELi4ENS_8SequenceIJLi8ELi32ELi1EEEENSD_IJLi1ELi0ELi2EEEESF_Li2ELi16ELi16ELb0ELi0ENSD_IJLi4ELi64ELi1EEEESF_SF_Li2ELi16ELi16ELb0ELi0ELi1ELi1ENSD_IJLi1ELi32ELi1ELi8EEEELi4ELNS_26BlockGemmPipelineSchedulerE1ELNS_24BlockGemmPipelineVersionE1ES6_S6_Lb0ELb1ELb0ELi0ELb0EEELb1ELNS_25InMemoryDataOperationEnumE1ELi2ELNS_10TailNumberE2EEEvNT_8ArgumentE.has_indirect_call, 0
	.section	.AMDGPU.csdata,"",@progbits
; Kernel info:
; codeLenInByte = 4
; TotalNumSgprs: 0
; NumVgprs: 0
; ScratchSize: 0
; MemoryBound: 0
; FloatMode: 240
; IeeeMode: 1
; LDSByteSize: 0 bytes/workgroup (compile time only)
; SGPRBlocks: 0
; VGPRBlocks: 0
; NumSGPRsForWavesPerEU: 1
; NumVGPRsForWavesPerEU: 1
; Occupancy: 16
; WaveLimiterHint : 0
; COMPUTE_PGM_RSRC2:SCRATCH_EN: 0
; COMPUTE_PGM_RSRC2:USER_SGPR: 2
; COMPUTE_PGM_RSRC2:TRAP_HANDLER: 0
; COMPUTE_PGM_RSRC2:TGID_X_EN: 1
; COMPUTE_PGM_RSRC2:TGID_Y_EN: 0
; COMPUTE_PGM_RSRC2:TGID_Z_EN: 0
; COMPUTE_PGM_RSRC2:TIDIG_COMP_CNT: 0
	.section	.text._ZN2ck27kernel_gemm_xdl_cshuffle_v3INS_28GridwiseGemm_xdl_cshuffle_v3INS_13tensor_layout4gemm8RowMajorENS3_11ColumnMajorES4_NS_9f8_fnuz_tENS_7pk_i4_tEfDF16_DF16_NS_16tensor_operation12element_wise11PassThroughESA_SA_LNS8_6device18GemmSpecializationE0ELi256ELi128ELi128ELi128ELi16ELi16ELi16ELi16ELi4ELi4ENS_8SequenceIJLi8ELi32ELi1EEEENSD_IJLi1ELi0ELi2EEEESF_Li2ELi16ELi16ELb0ELi0ENSD_IJLi4ELi64ELi1EEEESF_SF_Li2ELi16ELi16ELb0ELi0ELi1ELi1ENSD_IJLi1ELi32ELi1ELi8EEEELi4ELNS_26BlockGemmPipelineSchedulerE1ELNS_24BlockGemmPipelineVersionE1ES6_S6_Lb0ELb1ELb0ELi0ELb0EEELb1ELNS_25InMemoryDataOperationEnumE1ELi2ELNS_10TailNumberE10EEEvNT_8ArgumentE,"axG",@progbits,_ZN2ck27kernel_gemm_xdl_cshuffle_v3INS_28GridwiseGemm_xdl_cshuffle_v3INS_13tensor_layout4gemm8RowMajorENS3_11ColumnMajorES4_NS_9f8_fnuz_tENS_7pk_i4_tEfDF16_DF16_NS_16tensor_operation12element_wise11PassThroughESA_SA_LNS8_6device18GemmSpecializationE0ELi256ELi128ELi128ELi128ELi16ELi16ELi16ELi16ELi4ELi4ENS_8SequenceIJLi8ELi32ELi1EEEENSD_IJLi1ELi0ELi2EEEESF_Li2ELi16ELi16ELb0ELi0ENSD_IJLi4ELi64ELi1EEEESF_SF_Li2ELi16ELi16ELb0ELi0ELi1ELi1ENSD_IJLi1ELi32ELi1ELi8EEEELi4ELNS_26BlockGemmPipelineSchedulerE1ELNS_24BlockGemmPipelineVersionE1ES6_S6_Lb0ELb1ELb0ELi0ELb0EEELb1ELNS_25InMemoryDataOperationEnumE1ELi2ELNS_10TailNumberE10EEEvNT_8ArgumentE,comdat
	.protected	_ZN2ck27kernel_gemm_xdl_cshuffle_v3INS_28GridwiseGemm_xdl_cshuffle_v3INS_13tensor_layout4gemm8RowMajorENS3_11ColumnMajorES4_NS_9f8_fnuz_tENS_7pk_i4_tEfDF16_DF16_NS_16tensor_operation12element_wise11PassThroughESA_SA_LNS8_6device18GemmSpecializationE0ELi256ELi128ELi128ELi128ELi16ELi16ELi16ELi16ELi4ELi4ENS_8SequenceIJLi8ELi32ELi1EEEENSD_IJLi1ELi0ELi2EEEESF_Li2ELi16ELi16ELb0ELi0ENSD_IJLi4ELi64ELi1EEEESF_SF_Li2ELi16ELi16ELb0ELi0ELi1ELi1ENSD_IJLi1ELi32ELi1ELi8EEEELi4ELNS_26BlockGemmPipelineSchedulerE1ELNS_24BlockGemmPipelineVersionE1ES6_S6_Lb0ELb1ELb0ELi0ELb0EEELb1ELNS_25InMemoryDataOperationEnumE1ELi2ELNS_10TailNumberE10EEEvNT_8ArgumentE ; -- Begin function _ZN2ck27kernel_gemm_xdl_cshuffle_v3INS_28GridwiseGemm_xdl_cshuffle_v3INS_13tensor_layout4gemm8RowMajorENS3_11ColumnMajorES4_NS_9f8_fnuz_tENS_7pk_i4_tEfDF16_DF16_NS_16tensor_operation12element_wise11PassThroughESA_SA_LNS8_6device18GemmSpecializationE0ELi256ELi128ELi128ELi128ELi16ELi16ELi16ELi16ELi4ELi4ENS_8SequenceIJLi8ELi32ELi1EEEENSD_IJLi1ELi0ELi2EEEESF_Li2ELi16ELi16ELb0ELi0ENSD_IJLi4ELi64ELi1EEEESF_SF_Li2ELi16ELi16ELb0ELi0ELi1ELi1ENSD_IJLi1ELi32ELi1ELi8EEEELi4ELNS_26BlockGemmPipelineSchedulerE1ELNS_24BlockGemmPipelineVersionE1ES6_S6_Lb0ELb1ELb0ELi0ELb0EEELb1ELNS_25InMemoryDataOperationEnumE1ELi2ELNS_10TailNumberE10EEEvNT_8ArgumentE
	.globl	_ZN2ck27kernel_gemm_xdl_cshuffle_v3INS_28GridwiseGemm_xdl_cshuffle_v3INS_13tensor_layout4gemm8RowMajorENS3_11ColumnMajorES4_NS_9f8_fnuz_tENS_7pk_i4_tEfDF16_DF16_NS_16tensor_operation12element_wise11PassThroughESA_SA_LNS8_6device18GemmSpecializationE0ELi256ELi128ELi128ELi128ELi16ELi16ELi16ELi16ELi4ELi4ENS_8SequenceIJLi8ELi32ELi1EEEENSD_IJLi1ELi0ELi2EEEESF_Li2ELi16ELi16ELb0ELi0ENSD_IJLi4ELi64ELi1EEEESF_SF_Li2ELi16ELi16ELb0ELi0ELi1ELi1ENSD_IJLi1ELi32ELi1ELi8EEEELi4ELNS_26BlockGemmPipelineSchedulerE1ELNS_24BlockGemmPipelineVersionE1ES6_S6_Lb0ELb1ELb0ELi0ELb0EEELb1ELNS_25InMemoryDataOperationEnumE1ELi2ELNS_10TailNumberE10EEEvNT_8ArgumentE
	.p2align	8
	.type	_ZN2ck27kernel_gemm_xdl_cshuffle_v3INS_28GridwiseGemm_xdl_cshuffle_v3INS_13tensor_layout4gemm8RowMajorENS3_11ColumnMajorES4_NS_9f8_fnuz_tENS_7pk_i4_tEfDF16_DF16_NS_16tensor_operation12element_wise11PassThroughESA_SA_LNS8_6device18GemmSpecializationE0ELi256ELi128ELi128ELi128ELi16ELi16ELi16ELi16ELi4ELi4ENS_8SequenceIJLi8ELi32ELi1EEEENSD_IJLi1ELi0ELi2EEEESF_Li2ELi16ELi16ELb0ELi0ENSD_IJLi4ELi64ELi1EEEESF_SF_Li2ELi16ELi16ELb0ELi0ELi1ELi1ENSD_IJLi1ELi32ELi1ELi8EEEELi4ELNS_26BlockGemmPipelineSchedulerE1ELNS_24BlockGemmPipelineVersionE1ES6_S6_Lb0ELb1ELb0ELi0ELb0EEELb1ELNS_25InMemoryDataOperationEnumE1ELi2ELNS_10TailNumberE10EEEvNT_8ArgumentE,@function
_ZN2ck27kernel_gemm_xdl_cshuffle_v3INS_28GridwiseGemm_xdl_cshuffle_v3INS_13tensor_layout4gemm8RowMajorENS3_11ColumnMajorES4_NS_9f8_fnuz_tENS_7pk_i4_tEfDF16_DF16_NS_16tensor_operation12element_wise11PassThroughESA_SA_LNS8_6device18GemmSpecializationE0ELi256ELi128ELi128ELi128ELi16ELi16ELi16ELi16ELi4ELi4ENS_8SequenceIJLi8ELi32ELi1EEEENSD_IJLi1ELi0ELi2EEEESF_Li2ELi16ELi16ELb0ELi0ENSD_IJLi4ELi64ELi1EEEESF_SF_Li2ELi16ELi16ELb0ELi0ELi1ELi1ENSD_IJLi1ELi32ELi1ELi8EEEELi4ELNS_26BlockGemmPipelineSchedulerE1ELNS_24BlockGemmPipelineVersionE1ES6_S6_Lb0ELb1ELb0ELi0ELb0EEELb1ELNS_25InMemoryDataOperationEnumE1ELi2ELNS_10TailNumberE10EEEvNT_8ArgumentE: ; @_ZN2ck27kernel_gemm_xdl_cshuffle_v3INS_28GridwiseGemm_xdl_cshuffle_v3INS_13tensor_layout4gemm8RowMajorENS3_11ColumnMajorES4_NS_9f8_fnuz_tENS_7pk_i4_tEfDF16_DF16_NS_16tensor_operation12element_wise11PassThroughESA_SA_LNS8_6device18GemmSpecializationE0ELi256ELi128ELi128ELi128ELi16ELi16ELi16ELi16ELi4ELi4ENS_8SequenceIJLi8ELi32ELi1EEEENSD_IJLi1ELi0ELi2EEEESF_Li2ELi16ELi16ELb0ELi0ENSD_IJLi4ELi64ELi1EEEESF_SF_Li2ELi16ELi16ELb0ELi0ELi1ELi1ENSD_IJLi1ELi32ELi1ELi8EEEELi4ELNS_26BlockGemmPipelineSchedulerE1ELNS_24BlockGemmPipelineVersionE1ES6_S6_Lb0ELb1ELb0ELi0ELb0EEELb1ELNS_25InMemoryDataOperationEnumE1ELi2ELNS_10TailNumberE10EEEvNT_8ArgumentE
; %bb.0:
	s_endpgm
	.section	.rodata,"a",@progbits
	.p2align	6, 0x0
	.amdhsa_kernel _ZN2ck27kernel_gemm_xdl_cshuffle_v3INS_28GridwiseGemm_xdl_cshuffle_v3INS_13tensor_layout4gemm8RowMajorENS3_11ColumnMajorES4_NS_9f8_fnuz_tENS_7pk_i4_tEfDF16_DF16_NS_16tensor_operation12element_wise11PassThroughESA_SA_LNS8_6device18GemmSpecializationE0ELi256ELi128ELi128ELi128ELi16ELi16ELi16ELi16ELi4ELi4ENS_8SequenceIJLi8ELi32ELi1EEEENSD_IJLi1ELi0ELi2EEEESF_Li2ELi16ELi16ELb0ELi0ENSD_IJLi4ELi64ELi1EEEESF_SF_Li2ELi16ELi16ELb0ELi0ELi1ELi1ENSD_IJLi1ELi32ELi1ELi8EEEELi4ELNS_26BlockGemmPipelineSchedulerE1ELNS_24BlockGemmPipelineVersionE1ES6_S6_Lb0ELb1ELb0ELi0ELb0EEELb1ELNS_25InMemoryDataOperationEnumE1ELi2ELNS_10TailNumberE10EEEvNT_8ArgumentE
		.amdhsa_group_segment_fixed_size 0
		.amdhsa_private_segment_fixed_size 0
		.amdhsa_kernarg_size 112
		.amdhsa_user_sgpr_count 2
		.amdhsa_user_sgpr_dispatch_ptr 0
		.amdhsa_user_sgpr_queue_ptr 0
		.amdhsa_user_sgpr_kernarg_segment_ptr 1
		.amdhsa_user_sgpr_dispatch_id 0
		.amdhsa_user_sgpr_private_segment_size 0
		.amdhsa_wavefront_size32 1
		.amdhsa_uses_dynamic_stack 0
		.amdhsa_enable_private_segment 0
		.amdhsa_system_sgpr_workgroup_id_x 1
		.amdhsa_system_sgpr_workgroup_id_y 0
		.amdhsa_system_sgpr_workgroup_id_z 0
		.amdhsa_system_sgpr_workgroup_info 0
		.amdhsa_system_vgpr_workitem_id 0
		.amdhsa_next_free_vgpr 1
		.amdhsa_next_free_sgpr 1
		.amdhsa_reserve_vcc 0
		.amdhsa_float_round_mode_32 0
		.amdhsa_float_round_mode_16_64 0
		.amdhsa_float_denorm_mode_32 3
		.amdhsa_float_denorm_mode_16_64 3
		.amdhsa_fp16_overflow 0
		.amdhsa_workgroup_processor_mode 1
		.amdhsa_memory_ordered 1
		.amdhsa_forward_progress 1
		.amdhsa_inst_pref_size 1
		.amdhsa_round_robin_scheduling 0
		.amdhsa_exception_fp_ieee_invalid_op 0
		.amdhsa_exception_fp_denorm_src 0
		.amdhsa_exception_fp_ieee_div_zero 0
		.amdhsa_exception_fp_ieee_overflow 0
		.amdhsa_exception_fp_ieee_underflow 0
		.amdhsa_exception_fp_ieee_inexact 0
		.amdhsa_exception_int_div_zero 0
	.end_amdhsa_kernel
	.section	.text._ZN2ck27kernel_gemm_xdl_cshuffle_v3INS_28GridwiseGemm_xdl_cshuffle_v3INS_13tensor_layout4gemm8RowMajorENS3_11ColumnMajorES4_NS_9f8_fnuz_tENS_7pk_i4_tEfDF16_DF16_NS_16tensor_operation12element_wise11PassThroughESA_SA_LNS8_6device18GemmSpecializationE0ELi256ELi128ELi128ELi128ELi16ELi16ELi16ELi16ELi4ELi4ENS_8SequenceIJLi8ELi32ELi1EEEENSD_IJLi1ELi0ELi2EEEESF_Li2ELi16ELi16ELb0ELi0ENSD_IJLi4ELi64ELi1EEEESF_SF_Li2ELi16ELi16ELb0ELi0ELi1ELi1ENSD_IJLi1ELi32ELi1ELi8EEEELi4ELNS_26BlockGemmPipelineSchedulerE1ELNS_24BlockGemmPipelineVersionE1ES6_S6_Lb0ELb1ELb0ELi0ELb0EEELb1ELNS_25InMemoryDataOperationEnumE1ELi2ELNS_10TailNumberE10EEEvNT_8ArgumentE,"axG",@progbits,_ZN2ck27kernel_gemm_xdl_cshuffle_v3INS_28GridwiseGemm_xdl_cshuffle_v3INS_13tensor_layout4gemm8RowMajorENS3_11ColumnMajorES4_NS_9f8_fnuz_tENS_7pk_i4_tEfDF16_DF16_NS_16tensor_operation12element_wise11PassThroughESA_SA_LNS8_6device18GemmSpecializationE0ELi256ELi128ELi128ELi128ELi16ELi16ELi16ELi16ELi4ELi4ENS_8SequenceIJLi8ELi32ELi1EEEENSD_IJLi1ELi0ELi2EEEESF_Li2ELi16ELi16ELb0ELi0ENSD_IJLi4ELi64ELi1EEEESF_SF_Li2ELi16ELi16ELb0ELi0ELi1ELi1ENSD_IJLi1ELi32ELi1ELi8EEEELi4ELNS_26BlockGemmPipelineSchedulerE1ELNS_24BlockGemmPipelineVersionE1ES6_S6_Lb0ELb1ELb0ELi0ELb0EEELb1ELNS_25InMemoryDataOperationEnumE1ELi2ELNS_10TailNumberE10EEEvNT_8ArgumentE,comdat
.Lfunc_end2:
	.size	_ZN2ck27kernel_gemm_xdl_cshuffle_v3INS_28GridwiseGemm_xdl_cshuffle_v3INS_13tensor_layout4gemm8RowMajorENS3_11ColumnMajorES4_NS_9f8_fnuz_tENS_7pk_i4_tEfDF16_DF16_NS_16tensor_operation12element_wise11PassThroughESA_SA_LNS8_6device18GemmSpecializationE0ELi256ELi128ELi128ELi128ELi16ELi16ELi16ELi16ELi4ELi4ENS_8SequenceIJLi8ELi32ELi1EEEENSD_IJLi1ELi0ELi2EEEESF_Li2ELi16ELi16ELb0ELi0ENSD_IJLi4ELi64ELi1EEEESF_SF_Li2ELi16ELi16ELb0ELi0ELi1ELi1ENSD_IJLi1ELi32ELi1ELi8EEEELi4ELNS_26BlockGemmPipelineSchedulerE1ELNS_24BlockGemmPipelineVersionE1ES6_S6_Lb0ELb1ELb0ELi0ELb0EEELb1ELNS_25InMemoryDataOperationEnumE1ELi2ELNS_10TailNumberE10EEEvNT_8ArgumentE, .Lfunc_end2-_ZN2ck27kernel_gemm_xdl_cshuffle_v3INS_28GridwiseGemm_xdl_cshuffle_v3INS_13tensor_layout4gemm8RowMajorENS3_11ColumnMajorES4_NS_9f8_fnuz_tENS_7pk_i4_tEfDF16_DF16_NS_16tensor_operation12element_wise11PassThroughESA_SA_LNS8_6device18GemmSpecializationE0ELi256ELi128ELi128ELi128ELi16ELi16ELi16ELi16ELi4ELi4ENS_8SequenceIJLi8ELi32ELi1EEEENSD_IJLi1ELi0ELi2EEEESF_Li2ELi16ELi16ELb0ELi0ENSD_IJLi4ELi64ELi1EEEESF_SF_Li2ELi16ELi16ELb0ELi0ELi1ELi1ENSD_IJLi1ELi32ELi1ELi8EEEELi4ELNS_26BlockGemmPipelineSchedulerE1ELNS_24BlockGemmPipelineVersionE1ES6_S6_Lb0ELb1ELb0ELi0ELb0EEELb1ELNS_25InMemoryDataOperationEnumE1ELi2ELNS_10TailNumberE10EEEvNT_8ArgumentE
                                        ; -- End function
	.set _ZN2ck27kernel_gemm_xdl_cshuffle_v3INS_28GridwiseGemm_xdl_cshuffle_v3INS_13tensor_layout4gemm8RowMajorENS3_11ColumnMajorES4_NS_9f8_fnuz_tENS_7pk_i4_tEfDF16_DF16_NS_16tensor_operation12element_wise11PassThroughESA_SA_LNS8_6device18GemmSpecializationE0ELi256ELi128ELi128ELi128ELi16ELi16ELi16ELi16ELi4ELi4ENS_8SequenceIJLi8ELi32ELi1EEEENSD_IJLi1ELi0ELi2EEEESF_Li2ELi16ELi16ELb0ELi0ENSD_IJLi4ELi64ELi1EEEESF_SF_Li2ELi16ELi16ELb0ELi0ELi1ELi1ENSD_IJLi1ELi32ELi1ELi8EEEELi4ELNS_26BlockGemmPipelineSchedulerE1ELNS_24BlockGemmPipelineVersionE1ES6_S6_Lb0ELb1ELb0ELi0ELb0EEELb1ELNS_25InMemoryDataOperationEnumE1ELi2ELNS_10TailNumberE10EEEvNT_8ArgumentE.num_vgpr, 0
	.set _ZN2ck27kernel_gemm_xdl_cshuffle_v3INS_28GridwiseGemm_xdl_cshuffle_v3INS_13tensor_layout4gemm8RowMajorENS3_11ColumnMajorES4_NS_9f8_fnuz_tENS_7pk_i4_tEfDF16_DF16_NS_16tensor_operation12element_wise11PassThroughESA_SA_LNS8_6device18GemmSpecializationE0ELi256ELi128ELi128ELi128ELi16ELi16ELi16ELi16ELi4ELi4ENS_8SequenceIJLi8ELi32ELi1EEEENSD_IJLi1ELi0ELi2EEEESF_Li2ELi16ELi16ELb0ELi0ENSD_IJLi4ELi64ELi1EEEESF_SF_Li2ELi16ELi16ELb0ELi0ELi1ELi1ENSD_IJLi1ELi32ELi1ELi8EEEELi4ELNS_26BlockGemmPipelineSchedulerE1ELNS_24BlockGemmPipelineVersionE1ES6_S6_Lb0ELb1ELb0ELi0ELb0EEELb1ELNS_25InMemoryDataOperationEnumE1ELi2ELNS_10TailNumberE10EEEvNT_8ArgumentE.num_agpr, 0
	.set _ZN2ck27kernel_gemm_xdl_cshuffle_v3INS_28GridwiseGemm_xdl_cshuffle_v3INS_13tensor_layout4gemm8RowMajorENS3_11ColumnMajorES4_NS_9f8_fnuz_tENS_7pk_i4_tEfDF16_DF16_NS_16tensor_operation12element_wise11PassThroughESA_SA_LNS8_6device18GemmSpecializationE0ELi256ELi128ELi128ELi128ELi16ELi16ELi16ELi16ELi4ELi4ENS_8SequenceIJLi8ELi32ELi1EEEENSD_IJLi1ELi0ELi2EEEESF_Li2ELi16ELi16ELb0ELi0ENSD_IJLi4ELi64ELi1EEEESF_SF_Li2ELi16ELi16ELb0ELi0ELi1ELi1ENSD_IJLi1ELi32ELi1ELi8EEEELi4ELNS_26BlockGemmPipelineSchedulerE1ELNS_24BlockGemmPipelineVersionE1ES6_S6_Lb0ELb1ELb0ELi0ELb0EEELb1ELNS_25InMemoryDataOperationEnumE1ELi2ELNS_10TailNumberE10EEEvNT_8ArgumentE.numbered_sgpr, 0
	.set _ZN2ck27kernel_gemm_xdl_cshuffle_v3INS_28GridwiseGemm_xdl_cshuffle_v3INS_13tensor_layout4gemm8RowMajorENS3_11ColumnMajorES4_NS_9f8_fnuz_tENS_7pk_i4_tEfDF16_DF16_NS_16tensor_operation12element_wise11PassThroughESA_SA_LNS8_6device18GemmSpecializationE0ELi256ELi128ELi128ELi128ELi16ELi16ELi16ELi16ELi4ELi4ENS_8SequenceIJLi8ELi32ELi1EEEENSD_IJLi1ELi0ELi2EEEESF_Li2ELi16ELi16ELb0ELi0ENSD_IJLi4ELi64ELi1EEEESF_SF_Li2ELi16ELi16ELb0ELi0ELi1ELi1ENSD_IJLi1ELi32ELi1ELi8EEEELi4ELNS_26BlockGemmPipelineSchedulerE1ELNS_24BlockGemmPipelineVersionE1ES6_S6_Lb0ELb1ELb0ELi0ELb0EEELb1ELNS_25InMemoryDataOperationEnumE1ELi2ELNS_10TailNumberE10EEEvNT_8ArgumentE.num_named_barrier, 0
	.set _ZN2ck27kernel_gemm_xdl_cshuffle_v3INS_28GridwiseGemm_xdl_cshuffle_v3INS_13tensor_layout4gemm8RowMajorENS3_11ColumnMajorES4_NS_9f8_fnuz_tENS_7pk_i4_tEfDF16_DF16_NS_16tensor_operation12element_wise11PassThroughESA_SA_LNS8_6device18GemmSpecializationE0ELi256ELi128ELi128ELi128ELi16ELi16ELi16ELi16ELi4ELi4ENS_8SequenceIJLi8ELi32ELi1EEEENSD_IJLi1ELi0ELi2EEEESF_Li2ELi16ELi16ELb0ELi0ENSD_IJLi4ELi64ELi1EEEESF_SF_Li2ELi16ELi16ELb0ELi0ELi1ELi1ENSD_IJLi1ELi32ELi1ELi8EEEELi4ELNS_26BlockGemmPipelineSchedulerE1ELNS_24BlockGemmPipelineVersionE1ES6_S6_Lb0ELb1ELb0ELi0ELb0EEELb1ELNS_25InMemoryDataOperationEnumE1ELi2ELNS_10TailNumberE10EEEvNT_8ArgumentE.private_seg_size, 0
	.set _ZN2ck27kernel_gemm_xdl_cshuffle_v3INS_28GridwiseGemm_xdl_cshuffle_v3INS_13tensor_layout4gemm8RowMajorENS3_11ColumnMajorES4_NS_9f8_fnuz_tENS_7pk_i4_tEfDF16_DF16_NS_16tensor_operation12element_wise11PassThroughESA_SA_LNS8_6device18GemmSpecializationE0ELi256ELi128ELi128ELi128ELi16ELi16ELi16ELi16ELi4ELi4ENS_8SequenceIJLi8ELi32ELi1EEEENSD_IJLi1ELi0ELi2EEEESF_Li2ELi16ELi16ELb0ELi0ENSD_IJLi4ELi64ELi1EEEESF_SF_Li2ELi16ELi16ELb0ELi0ELi1ELi1ENSD_IJLi1ELi32ELi1ELi8EEEELi4ELNS_26BlockGemmPipelineSchedulerE1ELNS_24BlockGemmPipelineVersionE1ES6_S6_Lb0ELb1ELb0ELi0ELb0EEELb1ELNS_25InMemoryDataOperationEnumE1ELi2ELNS_10TailNumberE10EEEvNT_8ArgumentE.uses_vcc, 0
	.set _ZN2ck27kernel_gemm_xdl_cshuffle_v3INS_28GridwiseGemm_xdl_cshuffle_v3INS_13tensor_layout4gemm8RowMajorENS3_11ColumnMajorES4_NS_9f8_fnuz_tENS_7pk_i4_tEfDF16_DF16_NS_16tensor_operation12element_wise11PassThroughESA_SA_LNS8_6device18GemmSpecializationE0ELi256ELi128ELi128ELi128ELi16ELi16ELi16ELi16ELi4ELi4ENS_8SequenceIJLi8ELi32ELi1EEEENSD_IJLi1ELi0ELi2EEEESF_Li2ELi16ELi16ELb0ELi0ENSD_IJLi4ELi64ELi1EEEESF_SF_Li2ELi16ELi16ELb0ELi0ELi1ELi1ENSD_IJLi1ELi32ELi1ELi8EEEELi4ELNS_26BlockGemmPipelineSchedulerE1ELNS_24BlockGemmPipelineVersionE1ES6_S6_Lb0ELb1ELb0ELi0ELb0EEELb1ELNS_25InMemoryDataOperationEnumE1ELi2ELNS_10TailNumberE10EEEvNT_8ArgumentE.uses_flat_scratch, 0
	.set _ZN2ck27kernel_gemm_xdl_cshuffle_v3INS_28GridwiseGemm_xdl_cshuffle_v3INS_13tensor_layout4gemm8RowMajorENS3_11ColumnMajorES4_NS_9f8_fnuz_tENS_7pk_i4_tEfDF16_DF16_NS_16tensor_operation12element_wise11PassThroughESA_SA_LNS8_6device18GemmSpecializationE0ELi256ELi128ELi128ELi128ELi16ELi16ELi16ELi16ELi4ELi4ENS_8SequenceIJLi8ELi32ELi1EEEENSD_IJLi1ELi0ELi2EEEESF_Li2ELi16ELi16ELb0ELi0ENSD_IJLi4ELi64ELi1EEEESF_SF_Li2ELi16ELi16ELb0ELi0ELi1ELi1ENSD_IJLi1ELi32ELi1ELi8EEEELi4ELNS_26BlockGemmPipelineSchedulerE1ELNS_24BlockGemmPipelineVersionE1ES6_S6_Lb0ELb1ELb0ELi0ELb0EEELb1ELNS_25InMemoryDataOperationEnumE1ELi2ELNS_10TailNumberE10EEEvNT_8ArgumentE.has_dyn_sized_stack, 0
	.set _ZN2ck27kernel_gemm_xdl_cshuffle_v3INS_28GridwiseGemm_xdl_cshuffle_v3INS_13tensor_layout4gemm8RowMajorENS3_11ColumnMajorES4_NS_9f8_fnuz_tENS_7pk_i4_tEfDF16_DF16_NS_16tensor_operation12element_wise11PassThroughESA_SA_LNS8_6device18GemmSpecializationE0ELi256ELi128ELi128ELi128ELi16ELi16ELi16ELi16ELi4ELi4ENS_8SequenceIJLi8ELi32ELi1EEEENSD_IJLi1ELi0ELi2EEEESF_Li2ELi16ELi16ELb0ELi0ENSD_IJLi4ELi64ELi1EEEESF_SF_Li2ELi16ELi16ELb0ELi0ELi1ELi1ENSD_IJLi1ELi32ELi1ELi8EEEELi4ELNS_26BlockGemmPipelineSchedulerE1ELNS_24BlockGemmPipelineVersionE1ES6_S6_Lb0ELb1ELb0ELi0ELb0EEELb1ELNS_25InMemoryDataOperationEnumE1ELi2ELNS_10TailNumberE10EEEvNT_8ArgumentE.has_recursion, 0
	.set _ZN2ck27kernel_gemm_xdl_cshuffle_v3INS_28GridwiseGemm_xdl_cshuffle_v3INS_13tensor_layout4gemm8RowMajorENS3_11ColumnMajorES4_NS_9f8_fnuz_tENS_7pk_i4_tEfDF16_DF16_NS_16tensor_operation12element_wise11PassThroughESA_SA_LNS8_6device18GemmSpecializationE0ELi256ELi128ELi128ELi128ELi16ELi16ELi16ELi16ELi4ELi4ENS_8SequenceIJLi8ELi32ELi1EEEENSD_IJLi1ELi0ELi2EEEESF_Li2ELi16ELi16ELb0ELi0ENSD_IJLi4ELi64ELi1EEEESF_SF_Li2ELi16ELi16ELb0ELi0ELi1ELi1ENSD_IJLi1ELi32ELi1ELi8EEEELi4ELNS_26BlockGemmPipelineSchedulerE1ELNS_24BlockGemmPipelineVersionE1ES6_S6_Lb0ELb1ELb0ELi0ELb0EEELb1ELNS_25InMemoryDataOperationEnumE1ELi2ELNS_10TailNumberE10EEEvNT_8ArgumentE.has_indirect_call, 0
	.section	.AMDGPU.csdata,"",@progbits
; Kernel info:
; codeLenInByte = 4
; TotalNumSgprs: 0
; NumVgprs: 0
; ScratchSize: 0
; MemoryBound: 0
; FloatMode: 240
; IeeeMode: 1
; LDSByteSize: 0 bytes/workgroup (compile time only)
; SGPRBlocks: 0
; VGPRBlocks: 0
; NumSGPRsForWavesPerEU: 1
; NumVGPRsForWavesPerEU: 1
; Occupancy: 16
; WaveLimiterHint : 0
; COMPUTE_PGM_RSRC2:SCRATCH_EN: 0
; COMPUTE_PGM_RSRC2:USER_SGPR: 2
; COMPUTE_PGM_RSRC2:TRAP_HANDLER: 0
; COMPUTE_PGM_RSRC2:TGID_X_EN: 1
; COMPUTE_PGM_RSRC2:TGID_Y_EN: 0
; COMPUTE_PGM_RSRC2:TGID_Z_EN: 0
; COMPUTE_PGM_RSRC2:TIDIG_COMP_CNT: 0
	.section	.text._ZN2ck27kernel_gemm_xdl_cshuffle_v3INS_28GridwiseGemm_xdl_cshuffle_v3INS_13tensor_layout4gemm8RowMajorENS3_11ColumnMajorES4_NS_9f8_fnuz_tENS_7pk_i4_tEfDF16_DF16_NS_16tensor_operation12element_wise11PassThroughESA_SA_LNS8_6device18GemmSpecializationE0ELi256ELi128ELi128ELi128ELi16ELi16ELi16ELi16ELi4ELi4ENS_8SequenceIJLi8ELi32ELi1EEEENSD_IJLi1ELi0ELi2EEEESF_Li2ELi16ELi16ELb0ELi0ENSD_IJLi4ELi64ELi1EEEESF_SF_Li2ELi16ELi16ELb0ELi0ELi1ELi1ENSD_IJLi1ELi32ELi1ELi8EEEELi4ELNS_26BlockGemmPipelineSchedulerE1ELNS_24BlockGemmPipelineVersionE1ES6_S6_Lb0ELb1ELb0ELi0ELb0EEELb1ELNS_25InMemoryDataOperationEnumE0ELi2ELNS_10TailNumberE2EEEvNT_8ArgumentE,"axG",@progbits,_ZN2ck27kernel_gemm_xdl_cshuffle_v3INS_28GridwiseGemm_xdl_cshuffle_v3INS_13tensor_layout4gemm8RowMajorENS3_11ColumnMajorES4_NS_9f8_fnuz_tENS_7pk_i4_tEfDF16_DF16_NS_16tensor_operation12element_wise11PassThroughESA_SA_LNS8_6device18GemmSpecializationE0ELi256ELi128ELi128ELi128ELi16ELi16ELi16ELi16ELi4ELi4ENS_8SequenceIJLi8ELi32ELi1EEEENSD_IJLi1ELi0ELi2EEEESF_Li2ELi16ELi16ELb0ELi0ENSD_IJLi4ELi64ELi1EEEESF_SF_Li2ELi16ELi16ELb0ELi0ELi1ELi1ENSD_IJLi1ELi32ELi1ELi8EEEELi4ELNS_26BlockGemmPipelineSchedulerE1ELNS_24BlockGemmPipelineVersionE1ES6_S6_Lb0ELb1ELb0ELi0ELb0EEELb1ELNS_25InMemoryDataOperationEnumE0ELi2ELNS_10TailNumberE2EEEvNT_8ArgumentE,comdat
	.protected	_ZN2ck27kernel_gemm_xdl_cshuffle_v3INS_28GridwiseGemm_xdl_cshuffle_v3INS_13tensor_layout4gemm8RowMajorENS3_11ColumnMajorES4_NS_9f8_fnuz_tENS_7pk_i4_tEfDF16_DF16_NS_16tensor_operation12element_wise11PassThroughESA_SA_LNS8_6device18GemmSpecializationE0ELi256ELi128ELi128ELi128ELi16ELi16ELi16ELi16ELi4ELi4ENS_8SequenceIJLi8ELi32ELi1EEEENSD_IJLi1ELi0ELi2EEEESF_Li2ELi16ELi16ELb0ELi0ENSD_IJLi4ELi64ELi1EEEESF_SF_Li2ELi16ELi16ELb0ELi0ELi1ELi1ENSD_IJLi1ELi32ELi1ELi8EEEELi4ELNS_26BlockGemmPipelineSchedulerE1ELNS_24BlockGemmPipelineVersionE1ES6_S6_Lb0ELb1ELb0ELi0ELb0EEELb1ELNS_25InMemoryDataOperationEnumE0ELi2ELNS_10TailNumberE2EEEvNT_8ArgumentE ; -- Begin function _ZN2ck27kernel_gemm_xdl_cshuffle_v3INS_28GridwiseGemm_xdl_cshuffle_v3INS_13tensor_layout4gemm8RowMajorENS3_11ColumnMajorES4_NS_9f8_fnuz_tENS_7pk_i4_tEfDF16_DF16_NS_16tensor_operation12element_wise11PassThroughESA_SA_LNS8_6device18GemmSpecializationE0ELi256ELi128ELi128ELi128ELi16ELi16ELi16ELi16ELi4ELi4ENS_8SequenceIJLi8ELi32ELi1EEEENSD_IJLi1ELi0ELi2EEEESF_Li2ELi16ELi16ELb0ELi0ENSD_IJLi4ELi64ELi1EEEESF_SF_Li2ELi16ELi16ELb0ELi0ELi1ELi1ENSD_IJLi1ELi32ELi1ELi8EEEELi4ELNS_26BlockGemmPipelineSchedulerE1ELNS_24BlockGemmPipelineVersionE1ES6_S6_Lb0ELb1ELb0ELi0ELb0EEELb1ELNS_25InMemoryDataOperationEnumE0ELi2ELNS_10TailNumberE2EEEvNT_8ArgumentE
	.globl	_ZN2ck27kernel_gemm_xdl_cshuffle_v3INS_28GridwiseGemm_xdl_cshuffle_v3INS_13tensor_layout4gemm8RowMajorENS3_11ColumnMajorES4_NS_9f8_fnuz_tENS_7pk_i4_tEfDF16_DF16_NS_16tensor_operation12element_wise11PassThroughESA_SA_LNS8_6device18GemmSpecializationE0ELi256ELi128ELi128ELi128ELi16ELi16ELi16ELi16ELi4ELi4ENS_8SequenceIJLi8ELi32ELi1EEEENSD_IJLi1ELi0ELi2EEEESF_Li2ELi16ELi16ELb0ELi0ENSD_IJLi4ELi64ELi1EEEESF_SF_Li2ELi16ELi16ELb0ELi0ELi1ELi1ENSD_IJLi1ELi32ELi1ELi8EEEELi4ELNS_26BlockGemmPipelineSchedulerE1ELNS_24BlockGemmPipelineVersionE1ES6_S6_Lb0ELb1ELb0ELi0ELb0EEELb1ELNS_25InMemoryDataOperationEnumE0ELi2ELNS_10TailNumberE2EEEvNT_8ArgumentE
	.p2align	8
	.type	_ZN2ck27kernel_gemm_xdl_cshuffle_v3INS_28GridwiseGemm_xdl_cshuffle_v3INS_13tensor_layout4gemm8RowMajorENS3_11ColumnMajorES4_NS_9f8_fnuz_tENS_7pk_i4_tEfDF16_DF16_NS_16tensor_operation12element_wise11PassThroughESA_SA_LNS8_6device18GemmSpecializationE0ELi256ELi128ELi128ELi128ELi16ELi16ELi16ELi16ELi4ELi4ENS_8SequenceIJLi8ELi32ELi1EEEENSD_IJLi1ELi0ELi2EEEESF_Li2ELi16ELi16ELb0ELi0ENSD_IJLi4ELi64ELi1EEEESF_SF_Li2ELi16ELi16ELb0ELi0ELi1ELi1ENSD_IJLi1ELi32ELi1ELi8EEEELi4ELNS_26BlockGemmPipelineSchedulerE1ELNS_24BlockGemmPipelineVersionE1ES6_S6_Lb0ELb1ELb0ELi0ELb0EEELb1ELNS_25InMemoryDataOperationEnumE0ELi2ELNS_10TailNumberE2EEEvNT_8ArgumentE,@function
_ZN2ck27kernel_gemm_xdl_cshuffle_v3INS_28GridwiseGemm_xdl_cshuffle_v3INS_13tensor_layout4gemm8RowMajorENS3_11ColumnMajorES4_NS_9f8_fnuz_tENS_7pk_i4_tEfDF16_DF16_NS_16tensor_operation12element_wise11PassThroughESA_SA_LNS8_6device18GemmSpecializationE0ELi256ELi128ELi128ELi128ELi16ELi16ELi16ELi16ELi4ELi4ENS_8SequenceIJLi8ELi32ELi1EEEENSD_IJLi1ELi0ELi2EEEESF_Li2ELi16ELi16ELb0ELi0ENSD_IJLi4ELi64ELi1EEEESF_SF_Li2ELi16ELi16ELb0ELi0ELi1ELi1ENSD_IJLi1ELi32ELi1ELi8EEEELi4ELNS_26BlockGemmPipelineSchedulerE1ELNS_24BlockGemmPipelineVersionE1ES6_S6_Lb0ELb1ELb0ELi0ELb0EEELb1ELNS_25InMemoryDataOperationEnumE0ELi2ELNS_10TailNumberE2EEEvNT_8ArgumentE: ; @_ZN2ck27kernel_gemm_xdl_cshuffle_v3INS_28GridwiseGemm_xdl_cshuffle_v3INS_13tensor_layout4gemm8RowMajorENS3_11ColumnMajorES4_NS_9f8_fnuz_tENS_7pk_i4_tEfDF16_DF16_NS_16tensor_operation12element_wise11PassThroughESA_SA_LNS8_6device18GemmSpecializationE0ELi256ELi128ELi128ELi128ELi16ELi16ELi16ELi16ELi4ELi4ENS_8SequenceIJLi8ELi32ELi1EEEENSD_IJLi1ELi0ELi2EEEESF_Li2ELi16ELi16ELb0ELi0ENSD_IJLi4ELi64ELi1EEEESF_SF_Li2ELi16ELi16ELb0ELi0ELi1ELi1ENSD_IJLi1ELi32ELi1ELi8EEEELi4ELNS_26BlockGemmPipelineSchedulerE1ELNS_24BlockGemmPipelineVersionE1ES6_S6_Lb0ELb1ELb0ELi0ELb0EEELb1ELNS_25InMemoryDataOperationEnumE0ELi2ELNS_10TailNumberE2EEEvNT_8ArgumentE
; %bb.0:
	s_endpgm
	.section	.rodata,"a",@progbits
	.p2align	6, 0x0
	.amdhsa_kernel _ZN2ck27kernel_gemm_xdl_cshuffle_v3INS_28GridwiseGemm_xdl_cshuffle_v3INS_13tensor_layout4gemm8RowMajorENS3_11ColumnMajorES4_NS_9f8_fnuz_tENS_7pk_i4_tEfDF16_DF16_NS_16tensor_operation12element_wise11PassThroughESA_SA_LNS8_6device18GemmSpecializationE0ELi256ELi128ELi128ELi128ELi16ELi16ELi16ELi16ELi4ELi4ENS_8SequenceIJLi8ELi32ELi1EEEENSD_IJLi1ELi0ELi2EEEESF_Li2ELi16ELi16ELb0ELi0ENSD_IJLi4ELi64ELi1EEEESF_SF_Li2ELi16ELi16ELb0ELi0ELi1ELi1ENSD_IJLi1ELi32ELi1ELi8EEEELi4ELNS_26BlockGemmPipelineSchedulerE1ELNS_24BlockGemmPipelineVersionE1ES6_S6_Lb0ELb1ELb0ELi0ELb0EEELb1ELNS_25InMemoryDataOperationEnumE0ELi2ELNS_10TailNumberE2EEEvNT_8ArgumentE
		.amdhsa_group_segment_fixed_size 0
		.amdhsa_private_segment_fixed_size 0
		.amdhsa_kernarg_size 112
		.amdhsa_user_sgpr_count 2
		.amdhsa_user_sgpr_dispatch_ptr 0
		.amdhsa_user_sgpr_queue_ptr 0
		.amdhsa_user_sgpr_kernarg_segment_ptr 1
		.amdhsa_user_sgpr_dispatch_id 0
		.amdhsa_user_sgpr_private_segment_size 0
		.amdhsa_wavefront_size32 1
		.amdhsa_uses_dynamic_stack 0
		.amdhsa_enable_private_segment 0
		.amdhsa_system_sgpr_workgroup_id_x 1
		.amdhsa_system_sgpr_workgroup_id_y 0
		.amdhsa_system_sgpr_workgroup_id_z 0
		.amdhsa_system_sgpr_workgroup_info 0
		.amdhsa_system_vgpr_workitem_id 0
		.amdhsa_next_free_vgpr 1
		.amdhsa_next_free_sgpr 1
		.amdhsa_reserve_vcc 0
		.amdhsa_float_round_mode_32 0
		.amdhsa_float_round_mode_16_64 0
		.amdhsa_float_denorm_mode_32 3
		.amdhsa_float_denorm_mode_16_64 3
		.amdhsa_fp16_overflow 0
		.amdhsa_workgroup_processor_mode 1
		.amdhsa_memory_ordered 1
		.amdhsa_forward_progress 1
		.amdhsa_inst_pref_size 1
		.amdhsa_round_robin_scheduling 0
		.amdhsa_exception_fp_ieee_invalid_op 0
		.amdhsa_exception_fp_denorm_src 0
		.amdhsa_exception_fp_ieee_div_zero 0
		.amdhsa_exception_fp_ieee_overflow 0
		.amdhsa_exception_fp_ieee_underflow 0
		.amdhsa_exception_fp_ieee_inexact 0
		.amdhsa_exception_int_div_zero 0
	.end_amdhsa_kernel
	.section	.text._ZN2ck27kernel_gemm_xdl_cshuffle_v3INS_28GridwiseGemm_xdl_cshuffle_v3INS_13tensor_layout4gemm8RowMajorENS3_11ColumnMajorES4_NS_9f8_fnuz_tENS_7pk_i4_tEfDF16_DF16_NS_16tensor_operation12element_wise11PassThroughESA_SA_LNS8_6device18GemmSpecializationE0ELi256ELi128ELi128ELi128ELi16ELi16ELi16ELi16ELi4ELi4ENS_8SequenceIJLi8ELi32ELi1EEEENSD_IJLi1ELi0ELi2EEEESF_Li2ELi16ELi16ELb0ELi0ENSD_IJLi4ELi64ELi1EEEESF_SF_Li2ELi16ELi16ELb0ELi0ELi1ELi1ENSD_IJLi1ELi32ELi1ELi8EEEELi4ELNS_26BlockGemmPipelineSchedulerE1ELNS_24BlockGemmPipelineVersionE1ES6_S6_Lb0ELb1ELb0ELi0ELb0EEELb1ELNS_25InMemoryDataOperationEnumE0ELi2ELNS_10TailNumberE2EEEvNT_8ArgumentE,"axG",@progbits,_ZN2ck27kernel_gemm_xdl_cshuffle_v3INS_28GridwiseGemm_xdl_cshuffle_v3INS_13tensor_layout4gemm8RowMajorENS3_11ColumnMajorES4_NS_9f8_fnuz_tENS_7pk_i4_tEfDF16_DF16_NS_16tensor_operation12element_wise11PassThroughESA_SA_LNS8_6device18GemmSpecializationE0ELi256ELi128ELi128ELi128ELi16ELi16ELi16ELi16ELi4ELi4ENS_8SequenceIJLi8ELi32ELi1EEEENSD_IJLi1ELi0ELi2EEEESF_Li2ELi16ELi16ELb0ELi0ENSD_IJLi4ELi64ELi1EEEESF_SF_Li2ELi16ELi16ELb0ELi0ELi1ELi1ENSD_IJLi1ELi32ELi1ELi8EEEELi4ELNS_26BlockGemmPipelineSchedulerE1ELNS_24BlockGemmPipelineVersionE1ES6_S6_Lb0ELb1ELb0ELi0ELb0EEELb1ELNS_25InMemoryDataOperationEnumE0ELi2ELNS_10TailNumberE2EEEvNT_8ArgumentE,comdat
.Lfunc_end3:
	.size	_ZN2ck27kernel_gemm_xdl_cshuffle_v3INS_28GridwiseGemm_xdl_cshuffle_v3INS_13tensor_layout4gemm8RowMajorENS3_11ColumnMajorES4_NS_9f8_fnuz_tENS_7pk_i4_tEfDF16_DF16_NS_16tensor_operation12element_wise11PassThroughESA_SA_LNS8_6device18GemmSpecializationE0ELi256ELi128ELi128ELi128ELi16ELi16ELi16ELi16ELi4ELi4ENS_8SequenceIJLi8ELi32ELi1EEEENSD_IJLi1ELi0ELi2EEEESF_Li2ELi16ELi16ELb0ELi0ENSD_IJLi4ELi64ELi1EEEESF_SF_Li2ELi16ELi16ELb0ELi0ELi1ELi1ENSD_IJLi1ELi32ELi1ELi8EEEELi4ELNS_26BlockGemmPipelineSchedulerE1ELNS_24BlockGemmPipelineVersionE1ES6_S6_Lb0ELb1ELb0ELi0ELb0EEELb1ELNS_25InMemoryDataOperationEnumE0ELi2ELNS_10TailNumberE2EEEvNT_8ArgumentE, .Lfunc_end3-_ZN2ck27kernel_gemm_xdl_cshuffle_v3INS_28GridwiseGemm_xdl_cshuffle_v3INS_13tensor_layout4gemm8RowMajorENS3_11ColumnMajorES4_NS_9f8_fnuz_tENS_7pk_i4_tEfDF16_DF16_NS_16tensor_operation12element_wise11PassThroughESA_SA_LNS8_6device18GemmSpecializationE0ELi256ELi128ELi128ELi128ELi16ELi16ELi16ELi16ELi4ELi4ENS_8SequenceIJLi8ELi32ELi1EEEENSD_IJLi1ELi0ELi2EEEESF_Li2ELi16ELi16ELb0ELi0ENSD_IJLi4ELi64ELi1EEEESF_SF_Li2ELi16ELi16ELb0ELi0ELi1ELi1ENSD_IJLi1ELi32ELi1ELi8EEEELi4ELNS_26BlockGemmPipelineSchedulerE1ELNS_24BlockGemmPipelineVersionE1ES6_S6_Lb0ELb1ELb0ELi0ELb0EEELb1ELNS_25InMemoryDataOperationEnumE0ELi2ELNS_10TailNumberE2EEEvNT_8ArgumentE
                                        ; -- End function
	.set _ZN2ck27kernel_gemm_xdl_cshuffle_v3INS_28GridwiseGemm_xdl_cshuffle_v3INS_13tensor_layout4gemm8RowMajorENS3_11ColumnMajorES4_NS_9f8_fnuz_tENS_7pk_i4_tEfDF16_DF16_NS_16tensor_operation12element_wise11PassThroughESA_SA_LNS8_6device18GemmSpecializationE0ELi256ELi128ELi128ELi128ELi16ELi16ELi16ELi16ELi4ELi4ENS_8SequenceIJLi8ELi32ELi1EEEENSD_IJLi1ELi0ELi2EEEESF_Li2ELi16ELi16ELb0ELi0ENSD_IJLi4ELi64ELi1EEEESF_SF_Li2ELi16ELi16ELb0ELi0ELi1ELi1ENSD_IJLi1ELi32ELi1ELi8EEEELi4ELNS_26BlockGemmPipelineSchedulerE1ELNS_24BlockGemmPipelineVersionE1ES6_S6_Lb0ELb1ELb0ELi0ELb0EEELb1ELNS_25InMemoryDataOperationEnumE0ELi2ELNS_10TailNumberE2EEEvNT_8ArgumentE.num_vgpr, 0
	.set _ZN2ck27kernel_gemm_xdl_cshuffle_v3INS_28GridwiseGemm_xdl_cshuffle_v3INS_13tensor_layout4gemm8RowMajorENS3_11ColumnMajorES4_NS_9f8_fnuz_tENS_7pk_i4_tEfDF16_DF16_NS_16tensor_operation12element_wise11PassThroughESA_SA_LNS8_6device18GemmSpecializationE0ELi256ELi128ELi128ELi128ELi16ELi16ELi16ELi16ELi4ELi4ENS_8SequenceIJLi8ELi32ELi1EEEENSD_IJLi1ELi0ELi2EEEESF_Li2ELi16ELi16ELb0ELi0ENSD_IJLi4ELi64ELi1EEEESF_SF_Li2ELi16ELi16ELb0ELi0ELi1ELi1ENSD_IJLi1ELi32ELi1ELi8EEEELi4ELNS_26BlockGemmPipelineSchedulerE1ELNS_24BlockGemmPipelineVersionE1ES6_S6_Lb0ELb1ELb0ELi0ELb0EEELb1ELNS_25InMemoryDataOperationEnumE0ELi2ELNS_10TailNumberE2EEEvNT_8ArgumentE.num_agpr, 0
	.set _ZN2ck27kernel_gemm_xdl_cshuffle_v3INS_28GridwiseGemm_xdl_cshuffle_v3INS_13tensor_layout4gemm8RowMajorENS3_11ColumnMajorES4_NS_9f8_fnuz_tENS_7pk_i4_tEfDF16_DF16_NS_16tensor_operation12element_wise11PassThroughESA_SA_LNS8_6device18GemmSpecializationE0ELi256ELi128ELi128ELi128ELi16ELi16ELi16ELi16ELi4ELi4ENS_8SequenceIJLi8ELi32ELi1EEEENSD_IJLi1ELi0ELi2EEEESF_Li2ELi16ELi16ELb0ELi0ENSD_IJLi4ELi64ELi1EEEESF_SF_Li2ELi16ELi16ELb0ELi0ELi1ELi1ENSD_IJLi1ELi32ELi1ELi8EEEELi4ELNS_26BlockGemmPipelineSchedulerE1ELNS_24BlockGemmPipelineVersionE1ES6_S6_Lb0ELb1ELb0ELi0ELb0EEELb1ELNS_25InMemoryDataOperationEnumE0ELi2ELNS_10TailNumberE2EEEvNT_8ArgumentE.numbered_sgpr, 0
	.set _ZN2ck27kernel_gemm_xdl_cshuffle_v3INS_28GridwiseGemm_xdl_cshuffle_v3INS_13tensor_layout4gemm8RowMajorENS3_11ColumnMajorES4_NS_9f8_fnuz_tENS_7pk_i4_tEfDF16_DF16_NS_16tensor_operation12element_wise11PassThroughESA_SA_LNS8_6device18GemmSpecializationE0ELi256ELi128ELi128ELi128ELi16ELi16ELi16ELi16ELi4ELi4ENS_8SequenceIJLi8ELi32ELi1EEEENSD_IJLi1ELi0ELi2EEEESF_Li2ELi16ELi16ELb0ELi0ENSD_IJLi4ELi64ELi1EEEESF_SF_Li2ELi16ELi16ELb0ELi0ELi1ELi1ENSD_IJLi1ELi32ELi1ELi8EEEELi4ELNS_26BlockGemmPipelineSchedulerE1ELNS_24BlockGemmPipelineVersionE1ES6_S6_Lb0ELb1ELb0ELi0ELb0EEELb1ELNS_25InMemoryDataOperationEnumE0ELi2ELNS_10TailNumberE2EEEvNT_8ArgumentE.num_named_barrier, 0
	.set _ZN2ck27kernel_gemm_xdl_cshuffle_v3INS_28GridwiseGemm_xdl_cshuffle_v3INS_13tensor_layout4gemm8RowMajorENS3_11ColumnMajorES4_NS_9f8_fnuz_tENS_7pk_i4_tEfDF16_DF16_NS_16tensor_operation12element_wise11PassThroughESA_SA_LNS8_6device18GemmSpecializationE0ELi256ELi128ELi128ELi128ELi16ELi16ELi16ELi16ELi4ELi4ENS_8SequenceIJLi8ELi32ELi1EEEENSD_IJLi1ELi0ELi2EEEESF_Li2ELi16ELi16ELb0ELi0ENSD_IJLi4ELi64ELi1EEEESF_SF_Li2ELi16ELi16ELb0ELi0ELi1ELi1ENSD_IJLi1ELi32ELi1ELi8EEEELi4ELNS_26BlockGemmPipelineSchedulerE1ELNS_24BlockGemmPipelineVersionE1ES6_S6_Lb0ELb1ELb0ELi0ELb0EEELb1ELNS_25InMemoryDataOperationEnumE0ELi2ELNS_10TailNumberE2EEEvNT_8ArgumentE.private_seg_size, 0
	.set _ZN2ck27kernel_gemm_xdl_cshuffle_v3INS_28GridwiseGemm_xdl_cshuffle_v3INS_13tensor_layout4gemm8RowMajorENS3_11ColumnMajorES4_NS_9f8_fnuz_tENS_7pk_i4_tEfDF16_DF16_NS_16tensor_operation12element_wise11PassThroughESA_SA_LNS8_6device18GemmSpecializationE0ELi256ELi128ELi128ELi128ELi16ELi16ELi16ELi16ELi4ELi4ENS_8SequenceIJLi8ELi32ELi1EEEENSD_IJLi1ELi0ELi2EEEESF_Li2ELi16ELi16ELb0ELi0ENSD_IJLi4ELi64ELi1EEEESF_SF_Li2ELi16ELi16ELb0ELi0ELi1ELi1ENSD_IJLi1ELi32ELi1ELi8EEEELi4ELNS_26BlockGemmPipelineSchedulerE1ELNS_24BlockGemmPipelineVersionE1ES6_S6_Lb0ELb1ELb0ELi0ELb0EEELb1ELNS_25InMemoryDataOperationEnumE0ELi2ELNS_10TailNumberE2EEEvNT_8ArgumentE.uses_vcc, 0
	.set _ZN2ck27kernel_gemm_xdl_cshuffle_v3INS_28GridwiseGemm_xdl_cshuffle_v3INS_13tensor_layout4gemm8RowMajorENS3_11ColumnMajorES4_NS_9f8_fnuz_tENS_7pk_i4_tEfDF16_DF16_NS_16tensor_operation12element_wise11PassThroughESA_SA_LNS8_6device18GemmSpecializationE0ELi256ELi128ELi128ELi128ELi16ELi16ELi16ELi16ELi4ELi4ENS_8SequenceIJLi8ELi32ELi1EEEENSD_IJLi1ELi0ELi2EEEESF_Li2ELi16ELi16ELb0ELi0ENSD_IJLi4ELi64ELi1EEEESF_SF_Li2ELi16ELi16ELb0ELi0ELi1ELi1ENSD_IJLi1ELi32ELi1ELi8EEEELi4ELNS_26BlockGemmPipelineSchedulerE1ELNS_24BlockGemmPipelineVersionE1ES6_S6_Lb0ELb1ELb0ELi0ELb0EEELb1ELNS_25InMemoryDataOperationEnumE0ELi2ELNS_10TailNumberE2EEEvNT_8ArgumentE.uses_flat_scratch, 0
	.set _ZN2ck27kernel_gemm_xdl_cshuffle_v3INS_28GridwiseGemm_xdl_cshuffle_v3INS_13tensor_layout4gemm8RowMajorENS3_11ColumnMajorES4_NS_9f8_fnuz_tENS_7pk_i4_tEfDF16_DF16_NS_16tensor_operation12element_wise11PassThroughESA_SA_LNS8_6device18GemmSpecializationE0ELi256ELi128ELi128ELi128ELi16ELi16ELi16ELi16ELi4ELi4ENS_8SequenceIJLi8ELi32ELi1EEEENSD_IJLi1ELi0ELi2EEEESF_Li2ELi16ELi16ELb0ELi0ENSD_IJLi4ELi64ELi1EEEESF_SF_Li2ELi16ELi16ELb0ELi0ELi1ELi1ENSD_IJLi1ELi32ELi1ELi8EEEELi4ELNS_26BlockGemmPipelineSchedulerE1ELNS_24BlockGemmPipelineVersionE1ES6_S6_Lb0ELb1ELb0ELi0ELb0EEELb1ELNS_25InMemoryDataOperationEnumE0ELi2ELNS_10TailNumberE2EEEvNT_8ArgumentE.has_dyn_sized_stack, 0
	.set _ZN2ck27kernel_gemm_xdl_cshuffle_v3INS_28GridwiseGemm_xdl_cshuffle_v3INS_13tensor_layout4gemm8RowMajorENS3_11ColumnMajorES4_NS_9f8_fnuz_tENS_7pk_i4_tEfDF16_DF16_NS_16tensor_operation12element_wise11PassThroughESA_SA_LNS8_6device18GemmSpecializationE0ELi256ELi128ELi128ELi128ELi16ELi16ELi16ELi16ELi4ELi4ENS_8SequenceIJLi8ELi32ELi1EEEENSD_IJLi1ELi0ELi2EEEESF_Li2ELi16ELi16ELb0ELi0ENSD_IJLi4ELi64ELi1EEEESF_SF_Li2ELi16ELi16ELb0ELi0ELi1ELi1ENSD_IJLi1ELi32ELi1ELi8EEEELi4ELNS_26BlockGemmPipelineSchedulerE1ELNS_24BlockGemmPipelineVersionE1ES6_S6_Lb0ELb1ELb0ELi0ELb0EEELb1ELNS_25InMemoryDataOperationEnumE0ELi2ELNS_10TailNumberE2EEEvNT_8ArgumentE.has_recursion, 0
	.set _ZN2ck27kernel_gemm_xdl_cshuffle_v3INS_28GridwiseGemm_xdl_cshuffle_v3INS_13tensor_layout4gemm8RowMajorENS3_11ColumnMajorES4_NS_9f8_fnuz_tENS_7pk_i4_tEfDF16_DF16_NS_16tensor_operation12element_wise11PassThroughESA_SA_LNS8_6device18GemmSpecializationE0ELi256ELi128ELi128ELi128ELi16ELi16ELi16ELi16ELi4ELi4ENS_8SequenceIJLi8ELi32ELi1EEEENSD_IJLi1ELi0ELi2EEEESF_Li2ELi16ELi16ELb0ELi0ENSD_IJLi4ELi64ELi1EEEESF_SF_Li2ELi16ELi16ELb0ELi0ELi1ELi1ENSD_IJLi1ELi32ELi1ELi8EEEELi4ELNS_26BlockGemmPipelineSchedulerE1ELNS_24BlockGemmPipelineVersionE1ES6_S6_Lb0ELb1ELb0ELi0ELb0EEELb1ELNS_25InMemoryDataOperationEnumE0ELi2ELNS_10TailNumberE2EEEvNT_8ArgumentE.has_indirect_call, 0
	.section	.AMDGPU.csdata,"",@progbits
; Kernel info:
; codeLenInByte = 4
; TotalNumSgprs: 0
; NumVgprs: 0
; ScratchSize: 0
; MemoryBound: 0
; FloatMode: 240
; IeeeMode: 1
; LDSByteSize: 0 bytes/workgroup (compile time only)
; SGPRBlocks: 0
; VGPRBlocks: 0
; NumSGPRsForWavesPerEU: 1
; NumVGPRsForWavesPerEU: 1
; Occupancy: 16
; WaveLimiterHint : 0
; COMPUTE_PGM_RSRC2:SCRATCH_EN: 0
; COMPUTE_PGM_RSRC2:USER_SGPR: 2
; COMPUTE_PGM_RSRC2:TRAP_HANDLER: 0
; COMPUTE_PGM_RSRC2:TGID_X_EN: 1
; COMPUTE_PGM_RSRC2:TGID_Y_EN: 0
; COMPUTE_PGM_RSRC2:TGID_Z_EN: 0
; COMPUTE_PGM_RSRC2:TIDIG_COMP_CNT: 0
	.section	.text._ZN2ck27kernel_gemm_xdl_cshuffle_v3INS_28GridwiseGemm_xdl_cshuffle_v3INS_13tensor_layout4gemm8RowMajorENS3_11ColumnMajorES4_NS_9f8_fnuz_tENS_7pk_i4_tEfDF16_DF16_NS_16tensor_operation12element_wise11PassThroughESA_SA_LNS8_6device18GemmSpecializationE0ELi256ELi128ELi128ELi128ELi16ELi16ELi16ELi16ELi4ELi4ENS_8SequenceIJLi8ELi32ELi1EEEENSD_IJLi1ELi0ELi2EEEESF_Li2ELi16ELi16ELb0ELi0ENSD_IJLi4ELi64ELi1EEEESF_SF_Li2ELi16ELi16ELb0ELi0ELi1ELi1ENSD_IJLi1ELi32ELi1ELi8EEEELi4ELNS_26BlockGemmPipelineSchedulerE1ELNS_24BlockGemmPipelineVersionE1ES6_S6_Lb0ELb1ELb0ELi0ELb0EEELb1ELNS_25InMemoryDataOperationEnumE0ELi2ELNS_10TailNumberE10EEEvNT_8ArgumentE,"axG",@progbits,_ZN2ck27kernel_gemm_xdl_cshuffle_v3INS_28GridwiseGemm_xdl_cshuffle_v3INS_13tensor_layout4gemm8RowMajorENS3_11ColumnMajorES4_NS_9f8_fnuz_tENS_7pk_i4_tEfDF16_DF16_NS_16tensor_operation12element_wise11PassThroughESA_SA_LNS8_6device18GemmSpecializationE0ELi256ELi128ELi128ELi128ELi16ELi16ELi16ELi16ELi4ELi4ENS_8SequenceIJLi8ELi32ELi1EEEENSD_IJLi1ELi0ELi2EEEESF_Li2ELi16ELi16ELb0ELi0ENSD_IJLi4ELi64ELi1EEEESF_SF_Li2ELi16ELi16ELb0ELi0ELi1ELi1ENSD_IJLi1ELi32ELi1ELi8EEEELi4ELNS_26BlockGemmPipelineSchedulerE1ELNS_24BlockGemmPipelineVersionE1ES6_S6_Lb0ELb1ELb0ELi0ELb0EEELb1ELNS_25InMemoryDataOperationEnumE0ELi2ELNS_10TailNumberE10EEEvNT_8ArgumentE,comdat
	.protected	_ZN2ck27kernel_gemm_xdl_cshuffle_v3INS_28GridwiseGemm_xdl_cshuffle_v3INS_13tensor_layout4gemm8RowMajorENS3_11ColumnMajorES4_NS_9f8_fnuz_tENS_7pk_i4_tEfDF16_DF16_NS_16tensor_operation12element_wise11PassThroughESA_SA_LNS8_6device18GemmSpecializationE0ELi256ELi128ELi128ELi128ELi16ELi16ELi16ELi16ELi4ELi4ENS_8SequenceIJLi8ELi32ELi1EEEENSD_IJLi1ELi0ELi2EEEESF_Li2ELi16ELi16ELb0ELi0ENSD_IJLi4ELi64ELi1EEEESF_SF_Li2ELi16ELi16ELb0ELi0ELi1ELi1ENSD_IJLi1ELi32ELi1ELi8EEEELi4ELNS_26BlockGemmPipelineSchedulerE1ELNS_24BlockGemmPipelineVersionE1ES6_S6_Lb0ELb1ELb0ELi0ELb0EEELb1ELNS_25InMemoryDataOperationEnumE0ELi2ELNS_10TailNumberE10EEEvNT_8ArgumentE ; -- Begin function _ZN2ck27kernel_gemm_xdl_cshuffle_v3INS_28GridwiseGemm_xdl_cshuffle_v3INS_13tensor_layout4gemm8RowMajorENS3_11ColumnMajorES4_NS_9f8_fnuz_tENS_7pk_i4_tEfDF16_DF16_NS_16tensor_operation12element_wise11PassThroughESA_SA_LNS8_6device18GemmSpecializationE0ELi256ELi128ELi128ELi128ELi16ELi16ELi16ELi16ELi4ELi4ENS_8SequenceIJLi8ELi32ELi1EEEENSD_IJLi1ELi0ELi2EEEESF_Li2ELi16ELi16ELb0ELi0ENSD_IJLi4ELi64ELi1EEEESF_SF_Li2ELi16ELi16ELb0ELi0ELi1ELi1ENSD_IJLi1ELi32ELi1ELi8EEEELi4ELNS_26BlockGemmPipelineSchedulerE1ELNS_24BlockGemmPipelineVersionE1ES6_S6_Lb0ELb1ELb0ELi0ELb0EEELb1ELNS_25InMemoryDataOperationEnumE0ELi2ELNS_10TailNumberE10EEEvNT_8ArgumentE
	.globl	_ZN2ck27kernel_gemm_xdl_cshuffle_v3INS_28GridwiseGemm_xdl_cshuffle_v3INS_13tensor_layout4gemm8RowMajorENS3_11ColumnMajorES4_NS_9f8_fnuz_tENS_7pk_i4_tEfDF16_DF16_NS_16tensor_operation12element_wise11PassThroughESA_SA_LNS8_6device18GemmSpecializationE0ELi256ELi128ELi128ELi128ELi16ELi16ELi16ELi16ELi4ELi4ENS_8SequenceIJLi8ELi32ELi1EEEENSD_IJLi1ELi0ELi2EEEESF_Li2ELi16ELi16ELb0ELi0ENSD_IJLi4ELi64ELi1EEEESF_SF_Li2ELi16ELi16ELb0ELi0ELi1ELi1ENSD_IJLi1ELi32ELi1ELi8EEEELi4ELNS_26BlockGemmPipelineSchedulerE1ELNS_24BlockGemmPipelineVersionE1ES6_S6_Lb0ELb1ELb0ELi0ELb0EEELb1ELNS_25InMemoryDataOperationEnumE0ELi2ELNS_10TailNumberE10EEEvNT_8ArgumentE
	.p2align	8
	.type	_ZN2ck27kernel_gemm_xdl_cshuffle_v3INS_28GridwiseGemm_xdl_cshuffle_v3INS_13tensor_layout4gemm8RowMajorENS3_11ColumnMajorES4_NS_9f8_fnuz_tENS_7pk_i4_tEfDF16_DF16_NS_16tensor_operation12element_wise11PassThroughESA_SA_LNS8_6device18GemmSpecializationE0ELi256ELi128ELi128ELi128ELi16ELi16ELi16ELi16ELi4ELi4ENS_8SequenceIJLi8ELi32ELi1EEEENSD_IJLi1ELi0ELi2EEEESF_Li2ELi16ELi16ELb0ELi0ENSD_IJLi4ELi64ELi1EEEESF_SF_Li2ELi16ELi16ELb0ELi0ELi1ELi1ENSD_IJLi1ELi32ELi1ELi8EEEELi4ELNS_26BlockGemmPipelineSchedulerE1ELNS_24BlockGemmPipelineVersionE1ES6_S6_Lb0ELb1ELb0ELi0ELb0EEELb1ELNS_25InMemoryDataOperationEnumE0ELi2ELNS_10TailNumberE10EEEvNT_8ArgumentE,@function
_ZN2ck27kernel_gemm_xdl_cshuffle_v3INS_28GridwiseGemm_xdl_cshuffle_v3INS_13tensor_layout4gemm8RowMajorENS3_11ColumnMajorES4_NS_9f8_fnuz_tENS_7pk_i4_tEfDF16_DF16_NS_16tensor_operation12element_wise11PassThroughESA_SA_LNS8_6device18GemmSpecializationE0ELi256ELi128ELi128ELi128ELi16ELi16ELi16ELi16ELi4ELi4ENS_8SequenceIJLi8ELi32ELi1EEEENSD_IJLi1ELi0ELi2EEEESF_Li2ELi16ELi16ELb0ELi0ENSD_IJLi4ELi64ELi1EEEESF_SF_Li2ELi16ELi16ELb0ELi0ELi1ELi1ENSD_IJLi1ELi32ELi1ELi8EEEELi4ELNS_26BlockGemmPipelineSchedulerE1ELNS_24BlockGemmPipelineVersionE1ES6_S6_Lb0ELb1ELb0ELi0ELb0EEELb1ELNS_25InMemoryDataOperationEnumE0ELi2ELNS_10TailNumberE10EEEvNT_8ArgumentE: ; @_ZN2ck27kernel_gemm_xdl_cshuffle_v3INS_28GridwiseGemm_xdl_cshuffle_v3INS_13tensor_layout4gemm8RowMajorENS3_11ColumnMajorES4_NS_9f8_fnuz_tENS_7pk_i4_tEfDF16_DF16_NS_16tensor_operation12element_wise11PassThroughESA_SA_LNS8_6device18GemmSpecializationE0ELi256ELi128ELi128ELi128ELi16ELi16ELi16ELi16ELi4ELi4ENS_8SequenceIJLi8ELi32ELi1EEEENSD_IJLi1ELi0ELi2EEEESF_Li2ELi16ELi16ELb0ELi0ENSD_IJLi4ELi64ELi1EEEESF_SF_Li2ELi16ELi16ELb0ELi0ELi1ELi1ENSD_IJLi1ELi32ELi1ELi8EEEELi4ELNS_26BlockGemmPipelineSchedulerE1ELNS_24BlockGemmPipelineVersionE1ES6_S6_Lb0ELb1ELb0ELi0ELb0EEELb1ELNS_25InMemoryDataOperationEnumE0ELi2ELNS_10TailNumberE10EEEvNT_8ArgumentE
; %bb.0:
	s_endpgm
	.section	.rodata,"a",@progbits
	.p2align	6, 0x0
	.amdhsa_kernel _ZN2ck27kernel_gemm_xdl_cshuffle_v3INS_28GridwiseGemm_xdl_cshuffle_v3INS_13tensor_layout4gemm8RowMajorENS3_11ColumnMajorES4_NS_9f8_fnuz_tENS_7pk_i4_tEfDF16_DF16_NS_16tensor_operation12element_wise11PassThroughESA_SA_LNS8_6device18GemmSpecializationE0ELi256ELi128ELi128ELi128ELi16ELi16ELi16ELi16ELi4ELi4ENS_8SequenceIJLi8ELi32ELi1EEEENSD_IJLi1ELi0ELi2EEEESF_Li2ELi16ELi16ELb0ELi0ENSD_IJLi4ELi64ELi1EEEESF_SF_Li2ELi16ELi16ELb0ELi0ELi1ELi1ENSD_IJLi1ELi32ELi1ELi8EEEELi4ELNS_26BlockGemmPipelineSchedulerE1ELNS_24BlockGemmPipelineVersionE1ES6_S6_Lb0ELb1ELb0ELi0ELb0EEELb1ELNS_25InMemoryDataOperationEnumE0ELi2ELNS_10TailNumberE10EEEvNT_8ArgumentE
		.amdhsa_group_segment_fixed_size 0
		.amdhsa_private_segment_fixed_size 0
		.amdhsa_kernarg_size 112
		.amdhsa_user_sgpr_count 2
		.amdhsa_user_sgpr_dispatch_ptr 0
		.amdhsa_user_sgpr_queue_ptr 0
		.amdhsa_user_sgpr_kernarg_segment_ptr 1
		.amdhsa_user_sgpr_dispatch_id 0
		.amdhsa_user_sgpr_private_segment_size 0
		.amdhsa_wavefront_size32 1
		.amdhsa_uses_dynamic_stack 0
		.amdhsa_enable_private_segment 0
		.amdhsa_system_sgpr_workgroup_id_x 1
		.amdhsa_system_sgpr_workgroup_id_y 0
		.amdhsa_system_sgpr_workgroup_id_z 0
		.amdhsa_system_sgpr_workgroup_info 0
		.amdhsa_system_vgpr_workitem_id 0
		.amdhsa_next_free_vgpr 1
		.amdhsa_next_free_sgpr 1
		.amdhsa_reserve_vcc 0
		.amdhsa_float_round_mode_32 0
		.amdhsa_float_round_mode_16_64 0
		.amdhsa_float_denorm_mode_32 3
		.amdhsa_float_denorm_mode_16_64 3
		.amdhsa_fp16_overflow 0
		.amdhsa_workgroup_processor_mode 1
		.amdhsa_memory_ordered 1
		.amdhsa_forward_progress 1
		.amdhsa_inst_pref_size 1
		.amdhsa_round_robin_scheduling 0
		.amdhsa_exception_fp_ieee_invalid_op 0
		.amdhsa_exception_fp_denorm_src 0
		.amdhsa_exception_fp_ieee_div_zero 0
		.amdhsa_exception_fp_ieee_overflow 0
		.amdhsa_exception_fp_ieee_underflow 0
		.amdhsa_exception_fp_ieee_inexact 0
		.amdhsa_exception_int_div_zero 0
	.end_amdhsa_kernel
	.section	.text._ZN2ck27kernel_gemm_xdl_cshuffle_v3INS_28GridwiseGemm_xdl_cshuffle_v3INS_13tensor_layout4gemm8RowMajorENS3_11ColumnMajorES4_NS_9f8_fnuz_tENS_7pk_i4_tEfDF16_DF16_NS_16tensor_operation12element_wise11PassThroughESA_SA_LNS8_6device18GemmSpecializationE0ELi256ELi128ELi128ELi128ELi16ELi16ELi16ELi16ELi4ELi4ENS_8SequenceIJLi8ELi32ELi1EEEENSD_IJLi1ELi0ELi2EEEESF_Li2ELi16ELi16ELb0ELi0ENSD_IJLi4ELi64ELi1EEEESF_SF_Li2ELi16ELi16ELb0ELi0ELi1ELi1ENSD_IJLi1ELi32ELi1ELi8EEEELi4ELNS_26BlockGemmPipelineSchedulerE1ELNS_24BlockGemmPipelineVersionE1ES6_S6_Lb0ELb1ELb0ELi0ELb0EEELb1ELNS_25InMemoryDataOperationEnumE0ELi2ELNS_10TailNumberE10EEEvNT_8ArgumentE,"axG",@progbits,_ZN2ck27kernel_gemm_xdl_cshuffle_v3INS_28GridwiseGemm_xdl_cshuffle_v3INS_13tensor_layout4gemm8RowMajorENS3_11ColumnMajorES4_NS_9f8_fnuz_tENS_7pk_i4_tEfDF16_DF16_NS_16tensor_operation12element_wise11PassThroughESA_SA_LNS8_6device18GemmSpecializationE0ELi256ELi128ELi128ELi128ELi16ELi16ELi16ELi16ELi4ELi4ENS_8SequenceIJLi8ELi32ELi1EEEENSD_IJLi1ELi0ELi2EEEESF_Li2ELi16ELi16ELb0ELi0ENSD_IJLi4ELi64ELi1EEEESF_SF_Li2ELi16ELi16ELb0ELi0ELi1ELi1ENSD_IJLi1ELi32ELi1ELi8EEEELi4ELNS_26BlockGemmPipelineSchedulerE1ELNS_24BlockGemmPipelineVersionE1ES6_S6_Lb0ELb1ELb0ELi0ELb0EEELb1ELNS_25InMemoryDataOperationEnumE0ELi2ELNS_10TailNumberE10EEEvNT_8ArgumentE,comdat
.Lfunc_end4:
	.size	_ZN2ck27kernel_gemm_xdl_cshuffle_v3INS_28GridwiseGemm_xdl_cshuffle_v3INS_13tensor_layout4gemm8RowMajorENS3_11ColumnMajorES4_NS_9f8_fnuz_tENS_7pk_i4_tEfDF16_DF16_NS_16tensor_operation12element_wise11PassThroughESA_SA_LNS8_6device18GemmSpecializationE0ELi256ELi128ELi128ELi128ELi16ELi16ELi16ELi16ELi4ELi4ENS_8SequenceIJLi8ELi32ELi1EEEENSD_IJLi1ELi0ELi2EEEESF_Li2ELi16ELi16ELb0ELi0ENSD_IJLi4ELi64ELi1EEEESF_SF_Li2ELi16ELi16ELb0ELi0ELi1ELi1ENSD_IJLi1ELi32ELi1ELi8EEEELi4ELNS_26BlockGemmPipelineSchedulerE1ELNS_24BlockGemmPipelineVersionE1ES6_S6_Lb0ELb1ELb0ELi0ELb0EEELb1ELNS_25InMemoryDataOperationEnumE0ELi2ELNS_10TailNumberE10EEEvNT_8ArgumentE, .Lfunc_end4-_ZN2ck27kernel_gemm_xdl_cshuffle_v3INS_28GridwiseGemm_xdl_cshuffle_v3INS_13tensor_layout4gemm8RowMajorENS3_11ColumnMajorES4_NS_9f8_fnuz_tENS_7pk_i4_tEfDF16_DF16_NS_16tensor_operation12element_wise11PassThroughESA_SA_LNS8_6device18GemmSpecializationE0ELi256ELi128ELi128ELi128ELi16ELi16ELi16ELi16ELi4ELi4ENS_8SequenceIJLi8ELi32ELi1EEEENSD_IJLi1ELi0ELi2EEEESF_Li2ELi16ELi16ELb0ELi0ENSD_IJLi4ELi64ELi1EEEESF_SF_Li2ELi16ELi16ELb0ELi0ELi1ELi1ENSD_IJLi1ELi32ELi1ELi8EEEELi4ELNS_26BlockGemmPipelineSchedulerE1ELNS_24BlockGemmPipelineVersionE1ES6_S6_Lb0ELb1ELb0ELi0ELb0EEELb1ELNS_25InMemoryDataOperationEnumE0ELi2ELNS_10TailNumberE10EEEvNT_8ArgumentE
                                        ; -- End function
	.set _ZN2ck27kernel_gemm_xdl_cshuffle_v3INS_28GridwiseGemm_xdl_cshuffle_v3INS_13tensor_layout4gemm8RowMajorENS3_11ColumnMajorES4_NS_9f8_fnuz_tENS_7pk_i4_tEfDF16_DF16_NS_16tensor_operation12element_wise11PassThroughESA_SA_LNS8_6device18GemmSpecializationE0ELi256ELi128ELi128ELi128ELi16ELi16ELi16ELi16ELi4ELi4ENS_8SequenceIJLi8ELi32ELi1EEEENSD_IJLi1ELi0ELi2EEEESF_Li2ELi16ELi16ELb0ELi0ENSD_IJLi4ELi64ELi1EEEESF_SF_Li2ELi16ELi16ELb0ELi0ELi1ELi1ENSD_IJLi1ELi32ELi1ELi8EEEELi4ELNS_26BlockGemmPipelineSchedulerE1ELNS_24BlockGemmPipelineVersionE1ES6_S6_Lb0ELb1ELb0ELi0ELb0EEELb1ELNS_25InMemoryDataOperationEnumE0ELi2ELNS_10TailNumberE10EEEvNT_8ArgumentE.num_vgpr, 0
	.set _ZN2ck27kernel_gemm_xdl_cshuffle_v3INS_28GridwiseGemm_xdl_cshuffle_v3INS_13tensor_layout4gemm8RowMajorENS3_11ColumnMajorES4_NS_9f8_fnuz_tENS_7pk_i4_tEfDF16_DF16_NS_16tensor_operation12element_wise11PassThroughESA_SA_LNS8_6device18GemmSpecializationE0ELi256ELi128ELi128ELi128ELi16ELi16ELi16ELi16ELi4ELi4ENS_8SequenceIJLi8ELi32ELi1EEEENSD_IJLi1ELi0ELi2EEEESF_Li2ELi16ELi16ELb0ELi0ENSD_IJLi4ELi64ELi1EEEESF_SF_Li2ELi16ELi16ELb0ELi0ELi1ELi1ENSD_IJLi1ELi32ELi1ELi8EEEELi4ELNS_26BlockGemmPipelineSchedulerE1ELNS_24BlockGemmPipelineVersionE1ES6_S6_Lb0ELb1ELb0ELi0ELb0EEELb1ELNS_25InMemoryDataOperationEnumE0ELi2ELNS_10TailNumberE10EEEvNT_8ArgumentE.num_agpr, 0
	.set _ZN2ck27kernel_gemm_xdl_cshuffle_v3INS_28GridwiseGemm_xdl_cshuffle_v3INS_13tensor_layout4gemm8RowMajorENS3_11ColumnMajorES4_NS_9f8_fnuz_tENS_7pk_i4_tEfDF16_DF16_NS_16tensor_operation12element_wise11PassThroughESA_SA_LNS8_6device18GemmSpecializationE0ELi256ELi128ELi128ELi128ELi16ELi16ELi16ELi16ELi4ELi4ENS_8SequenceIJLi8ELi32ELi1EEEENSD_IJLi1ELi0ELi2EEEESF_Li2ELi16ELi16ELb0ELi0ENSD_IJLi4ELi64ELi1EEEESF_SF_Li2ELi16ELi16ELb0ELi0ELi1ELi1ENSD_IJLi1ELi32ELi1ELi8EEEELi4ELNS_26BlockGemmPipelineSchedulerE1ELNS_24BlockGemmPipelineVersionE1ES6_S6_Lb0ELb1ELb0ELi0ELb0EEELb1ELNS_25InMemoryDataOperationEnumE0ELi2ELNS_10TailNumberE10EEEvNT_8ArgumentE.numbered_sgpr, 0
	.set _ZN2ck27kernel_gemm_xdl_cshuffle_v3INS_28GridwiseGemm_xdl_cshuffle_v3INS_13tensor_layout4gemm8RowMajorENS3_11ColumnMajorES4_NS_9f8_fnuz_tENS_7pk_i4_tEfDF16_DF16_NS_16tensor_operation12element_wise11PassThroughESA_SA_LNS8_6device18GemmSpecializationE0ELi256ELi128ELi128ELi128ELi16ELi16ELi16ELi16ELi4ELi4ENS_8SequenceIJLi8ELi32ELi1EEEENSD_IJLi1ELi0ELi2EEEESF_Li2ELi16ELi16ELb0ELi0ENSD_IJLi4ELi64ELi1EEEESF_SF_Li2ELi16ELi16ELb0ELi0ELi1ELi1ENSD_IJLi1ELi32ELi1ELi8EEEELi4ELNS_26BlockGemmPipelineSchedulerE1ELNS_24BlockGemmPipelineVersionE1ES6_S6_Lb0ELb1ELb0ELi0ELb0EEELb1ELNS_25InMemoryDataOperationEnumE0ELi2ELNS_10TailNumberE10EEEvNT_8ArgumentE.num_named_barrier, 0
	.set _ZN2ck27kernel_gemm_xdl_cshuffle_v3INS_28GridwiseGemm_xdl_cshuffle_v3INS_13tensor_layout4gemm8RowMajorENS3_11ColumnMajorES4_NS_9f8_fnuz_tENS_7pk_i4_tEfDF16_DF16_NS_16tensor_operation12element_wise11PassThroughESA_SA_LNS8_6device18GemmSpecializationE0ELi256ELi128ELi128ELi128ELi16ELi16ELi16ELi16ELi4ELi4ENS_8SequenceIJLi8ELi32ELi1EEEENSD_IJLi1ELi0ELi2EEEESF_Li2ELi16ELi16ELb0ELi0ENSD_IJLi4ELi64ELi1EEEESF_SF_Li2ELi16ELi16ELb0ELi0ELi1ELi1ENSD_IJLi1ELi32ELi1ELi8EEEELi4ELNS_26BlockGemmPipelineSchedulerE1ELNS_24BlockGemmPipelineVersionE1ES6_S6_Lb0ELb1ELb0ELi0ELb0EEELb1ELNS_25InMemoryDataOperationEnumE0ELi2ELNS_10TailNumberE10EEEvNT_8ArgumentE.private_seg_size, 0
	.set _ZN2ck27kernel_gemm_xdl_cshuffle_v3INS_28GridwiseGemm_xdl_cshuffle_v3INS_13tensor_layout4gemm8RowMajorENS3_11ColumnMajorES4_NS_9f8_fnuz_tENS_7pk_i4_tEfDF16_DF16_NS_16tensor_operation12element_wise11PassThroughESA_SA_LNS8_6device18GemmSpecializationE0ELi256ELi128ELi128ELi128ELi16ELi16ELi16ELi16ELi4ELi4ENS_8SequenceIJLi8ELi32ELi1EEEENSD_IJLi1ELi0ELi2EEEESF_Li2ELi16ELi16ELb0ELi0ENSD_IJLi4ELi64ELi1EEEESF_SF_Li2ELi16ELi16ELb0ELi0ELi1ELi1ENSD_IJLi1ELi32ELi1ELi8EEEELi4ELNS_26BlockGemmPipelineSchedulerE1ELNS_24BlockGemmPipelineVersionE1ES6_S6_Lb0ELb1ELb0ELi0ELb0EEELb1ELNS_25InMemoryDataOperationEnumE0ELi2ELNS_10TailNumberE10EEEvNT_8ArgumentE.uses_vcc, 0
	.set _ZN2ck27kernel_gemm_xdl_cshuffle_v3INS_28GridwiseGemm_xdl_cshuffle_v3INS_13tensor_layout4gemm8RowMajorENS3_11ColumnMajorES4_NS_9f8_fnuz_tENS_7pk_i4_tEfDF16_DF16_NS_16tensor_operation12element_wise11PassThroughESA_SA_LNS8_6device18GemmSpecializationE0ELi256ELi128ELi128ELi128ELi16ELi16ELi16ELi16ELi4ELi4ENS_8SequenceIJLi8ELi32ELi1EEEENSD_IJLi1ELi0ELi2EEEESF_Li2ELi16ELi16ELb0ELi0ENSD_IJLi4ELi64ELi1EEEESF_SF_Li2ELi16ELi16ELb0ELi0ELi1ELi1ENSD_IJLi1ELi32ELi1ELi8EEEELi4ELNS_26BlockGemmPipelineSchedulerE1ELNS_24BlockGemmPipelineVersionE1ES6_S6_Lb0ELb1ELb0ELi0ELb0EEELb1ELNS_25InMemoryDataOperationEnumE0ELi2ELNS_10TailNumberE10EEEvNT_8ArgumentE.uses_flat_scratch, 0
	.set _ZN2ck27kernel_gemm_xdl_cshuffle_v3INS_28GridwiseGemm_xdl_cshuffle_v3INS_13tensor_layout4gemm8RowMajorENS3_11ColumnMajorES4_NS_9f8_fnuz_tENS_7pk_i4_tEfDF16_DF16_NS_16tensor_operation12element_wise11PassThroughESA_SA_LNS8_6device18GemmSpecializationE0ELi256ELi128ELi128ELi128ELi16ELi16ELi16ELi16ELi4ELi4ENS_8SequenceIJLi8ELi32ELi1EEEENSD_IJLi1ELi0ELi2EEEESF_Li2ELi16ELi16ELb0ELi0ENSD_IJLi4ELi64ELi1EEEESF_SF_Li2ELi16ELi16ELb0ELi0ELi1ELi1ENSD_IJLi1ELi32ELi1ELi8EEEELi4ELNS_26BlockGemmPipelineSchedulerE1ELNS_24BlockGemmPipelineVersionE1ES6_S6_Lb0ELb1ELb0ELi0ELb0EEELb1ELNS_25InMemoryDataOperationEnumE0ELi2ELNS_10TailNumberE10EEEvNT_8ArgumentE.has_dyn_sized_stack, 0
	.set _ZN2ck27kernel_gemm_xdl_cshuffle_v3INS_28GridwiseGemm_xdl_cshuffle_v3INS_13tensor_layout4gemm8RowMajorENS3_11ColumnMajorES4_NS_9f8_fnuz_tENS_7pk_i4_tEfDF16_DF16_NS_16tensor_operation12element_wise11PassThroughESA_SA_LNS8_6device18GemmSpecializationE0ELi256ELi128ELi128ELi128ELi16ELi16ELi16ELi16ELi4ELi4ENS_8SequenceIJLi8ELi32ELi1EEEENSD_IJLi1ELi0ELi2EEEESF_Li2ELi16ELi16ELb0ELi0ENSD_IJLi4ELi64ELi1EEEESF_SF_Li2ELi16ELi16ELb0ELi0ELi1ELi1ENSD_IJLi1ELi32ELi1ELi8EEEELi4ELNS_26BlockGemmPipelineSchedulerE1ELNS_24BlockGemmPipelineVersionE1ES6_S6_Lb0ELb1ELb0ELi0ELb0EEELb1ELNS_25InMemoryDataOperationEnumE0ELi2ELNS_10TailNumberE10EEEvNT_8ArgumentE.has_recursion, 0
	.set _ZN2ck27kernel_gemm_xdl_cshuffle_v3INS_28GridwiseGemm_xdl_cshuffle_v3INS_13tensor_layout4gemm8RowMajorENS3_11ColumnMajorES4_NS_9f8_fnuz_tENS_7pk_i4_tEfDF16_DF16_NS_16tensor_operation12element_wise11PassThroughESA_SA_LNS8_6device18GemmSpecializationE0ELi256ELi128ELi128ELi128ELi16ELi16ELi16ELi16ELi4ELi4ENS_8SequenceIJLi8ELi32ELi1EEEENSD_IJLi1ELi0ELi2EEEESF_Li2ELi16ELi16ELb0ELi0ENSD_IJLi4ELi64ELi1EEEESF_SF_Li2ELi16ELi16ELb0ELi0ELi1ELi1ENSD_IJLi1ELi32ELi1ELi8EEEELi4ELNS_26BlockGemmPipelineSchedulerE1ELNS_24BlockGemmPipelineVersionE1ES6_S6_Lb0ELb1ELb0ELi0ELb0EEELb1ELNS_25InMemoryDataOperationEnumE0ELi2ELNS_10TailNumberE10EEEvNT_8ArgumentE.has_indirect_call, 0
	.section	.AMDGPU.csdata,"",@progbits
; Kernel info:
; codeLenInByte = 4
; TotalNumSgprs: 0
; NumVgprs: 0
; ScratchSize: 0
; MemoryBound: 0
; FloatMode: 240
; IeeeMode: 1
; LDSByteSize: 0 bytes/workgroup (compile time only)
; SGPRBlocks: 0
; VGPRBlocks: 0
; NumSGPRsForWavesPerEU: 1
; NumVGPRsForWavesPerEU: 1
; Occupancy: 16
; WaveLimiterHint : 0
; COMPUTE_PGM_RSRC2:SCRATCH_EN: 0
; COMPUTE_PGM_RSRC2:USER_SGPR: 2
; COMPUTE_PGM_RSRC2:TRAP_HANDLER: 0
; COMPUTE_PGM_RSRC2:TGID_X_EN: 1
; COMPUTE_PGM_RSRC2:TGID_Y_EN: 0
; COMPUTE_PGM_RSRC2:TGID_Z_EN: 0
; COMPUTE_PGM_RSRC2:TIDIG_COMP_CNT: 0
	.section	.text._ZN2ck27kernel_gemm_xdl_cshuffle_v3INS_28GridwiseGemm_xdl_cshuffle_v3INS_13tensor_layout4gemm8RowMajorENS3_11ColumnMajorES4_NS_9f8_fnuz_tENS_7pk_i4_tEfDF16_DF16_NS_16tensor_operation12element_wise11PassThroughESA_SA_LNS8_6device18GemmSpecializationE0ELi256ELi128ELi128ELi128ELi16ELi16ELi16ELi16ELi4ELi2ENS_8SequenceIJLi8ELi32ELi1EEEENSD_IJLi1ELi0ELi2EEEESF_Li2ELi16ELi16ELb0ELi0ENSD_IJLi4ELi64ELi1EEEESF_SF_Li2ELi16ELi16ELb0ELi0ELi1ELi1ENSD_IJLi1ELi32ELi1ELi8EEEELi4ELNS_26BlockGemmPipelineSchedulerE1ELNS_24BlockGemmPipelineVersionE1ES6_S6_Lb0ELb1ELb0ELi0ELb0EEELb1ELNS_25InMemoryDataOperationEnumE1ELi2ELNS_10TailNumberE2EEEvNT_8ArgumentE,"axG",@progbits,_ZN2ck27kernel_gemm_xdl_cshuffle_v3INS_28GridwiseGemm_xdl_cshuffle_v3INS_13tensor_layout4gemm8RowMajorENS3_11ColumnMajorES4_NS_9f8_fnuz_tENS_7pk_i4_tEfDF16_DF16_NS_16tensor_operation12element_wise11PassThroughESA_SA_LNS8_6device18GemmSpecializationE0ELi256ELi128ELi128ELi128ELi16ELi16ELi16ELi16ELi4ELi2ENS_8SequenceIJLi8ELi32ELi1EEEENSD_IJLi1ELi0ELi2EEEESF_Li2ELi16ELi16ELb0ELi0ENSD_IJLi4ELi64ELi1EEEESF_SF_Li2ELi16ELi16ELb0ELi0ELi1ELi1ENSD_IJLi1ELi32ELi1ELi8EEEELi4ELNS_26BlockGemmPipelineSchedulerE1ELNS_24BlockGemmPipelineVersionE1ES6_S6_Lb0ELb1ELb0ELi0ELb0EEELb1ELNS_25InMemoryDataOperationEnumE1ELi2ELNS_10TailNumberE2EEEvNT_8ArgumentE,comdat
	.protected	_ZN2ck27kernel_gemm_xdl_cshuffle_v3INS_28GridwiseGemm_xdl_cshuffle_v3INS_13tensor_layout4gemm8RowMajorENS3_11ColumnMajorES4_NS_9f8_fnuz_tENS_7pk_i4_tEfDF16_DF16_NS_16tensor_operation12element_wise11PassThroughESA_SA_LNS8_6device18GemmSpecializationE0ELi256ELi128ELi128ELi128ELi16ELi16ELi16ELi16ELi4ELi2ENS_8SequenceIJLi8ELi32ELi1EEEENSD_IJLi1ELi0ELi2EEEESF_Li2ELi16ELi16ELb0ELi0ENSD_IJLi4ELi64ELi1EEEESF_SF_Li2ELi16ELi16ELb0ELi0ELi1ELi1ENSD_IJLi1ELi32ELi1ELi8EEEELi4ELNS_26BlockGemmPipelineSchedulerE1ELNS_24BlockGemmPipelineVersionE1ES6_S6_Lb0ELb1ELb0ELi0ELb0EEELb1ELNS_25InMemoryDataOperationEnumE1ELi2ELNS_10TailNumberE2EEEvNT_8ArgumentE ; -- Begin function _ZN2ck27kernel_gemm_xdl_cshuffle_v3INS_28GridwiseGemm_xdl_cshuffle_v3INS_13tensor_layout4gemm8RowMajorENS3_11ColumnMajorES4_NS_9f8_fnuz_tENS_7pk_i4_tEfDF16_DF16_NS_16tensor_operation12element_wise11PassThroughESA_SA_LNS8_6device18GemmSpecializationE0ELi256ELi128ELi128ELi128ELi16ELi16ELi16ELi16ELi4ELi2ENS_8SequenceIJLi8ELi32ELi1EEEENSD_IJLi1ELi0ELi2EEEESF_Li2ELi16ELi16ELb0ELi0ENSD_IJLi4ELi64ELi1EEEESF_SF_Li2ELi16ELi16ELb0ELi0ELi1ELi1ENSD_IJLi1ELi32ELi1ELi8EEEELi4ELNS_26BlockGemmPipelineSchedulerE1ELNS_24BlockGemmPipelineVersionE1ES6_S6_Lb0ELb1ELb0ELi0ELb0EEELb1ELNS_25InMemoryDataOperationEnumE1ELi2ELNS_10TailNumberE2EEEvNT_8ArgumentE
	.globl	_ZN2ck27kernel_gemm_xdl_cshuffle_v3INS_28GridwiseGemm_xdl_cshuffle_v3INS_13tensor_layout4gemm8RowMajorENS3_11ColumnMajorES4_NS_9f8_fnuz_tENS_7pk_i4_tEfDF16_DF16_NS_16tensor_operation12element_wise11PassThroughESA_SA_LNS8_6device18GemmSpecializationE0ELi256ELi128ELi128ELi128ELi16ELi16ELi16ELi16ELi4ELi2ENS_8SequenceIJLi8ELi32ELi1EEEENSD_IJLi1ELi0ELi2EEEESF_Li2ELi16ELi16ELb0ELi0ENSD_IJLi4ELi64ELi1EEEESF_SF_Li2ELi16ELi16ELb0ELi0ELi1ELi1ENSD_IJLi1ELi32ELi1ELi8EEEELi4ELNS_26BlockGemmPipelineSchedulerE1ELNS_24BlockGemmPipelineVersionE1ES6_S6_Lb0ELb1ELb0ELi0ELb0EEELb1ELNS_25InMemoryDataOperationEnumE1ELi2ELNS_10TailNumberE2EEEvNT_8ArgumentE
	.p2align	8
	.type	_ZN2ck27kernel_gemm_xdl_cshuffle_v3INS_28GridwiseGemm_xdl_cshuffle_v3INS_13tensor_layout4gemm8RowMajorENS3_11ColumnMajorES4_NS_9f8_fnuz_tENS_7pk_i4_tEfDF16_DF16_NS_16tensor_operation12element_wise11PassThroughESA_SA_LNS8_6device18GemmSpecializationE0ELi256ELi128ELi128ELi128ELi16ELi16ELi16ELi16ELi4ELi2ENS_8SequenceIJLi8ELi32ELi1EEEENSD_IJLi1ELi0ELi2EEEESF_Li2ELi16ELi16ELb0ELi0ENSD_IJLi4ELi64ELi1EEEESF_SF_Li2ELi16ELi16ELb0ELi0ELi1ELi1ENSD_IJLi1ELi32ELi1ELi8EEEELi4ELNS_26BlockGemmPipelineSchedulerE1ELNS_24BlockGemmPipelineVersionE1ES6_S6_Lb0ELb1ELb0ELi0ELb0EEELb1ELNS_25InMemoryDataOperationEnumE1ELi2ELNS_10TailNumberE2EEEvNT_8ArgumentE,@function
_ZN2ck27kernel_gemm_xdl_cshuffle_v3INS_28GridwiseGemm_xdl_cshuffle_v3INS_13tensor_layout4gemm8RowMajorENS3_11ColumnMajorES4_NS_9f8_fnuz_tENS_7pk_i4_tEfDF16_DF16_NS_16tensor_operation12element_wise11PassThroughESA_SA_LNS8_6device18GemmSpecializationE0ELi256ELi128ELi128ELi128ELi16ELi16ELi16ELi16ELi4ELi2ENS_8SequenceIJLi8ELi32ELi1EEEENSD_IJLi1ELi0ELi2EEEESF_Li2ELi16ELi16ELb0ELi0ENSD_IJLi4ELi64ELi1EEEESF_SF_Li2ELi16ELi16ELb0ELi0ELi1ELi1ENSD_IJLi1ELi32ELi1ELi8EEEELi4ELNS_26BlockGemmPipelineSchedulerE1ELNS_24BlockGemmPipelineVersionE1ES6_S6_Lb0ELb1ELb0ELi0ELb0EEELb1ELNS_25InMemoryDataOperationEnumE1ELi2ELNS_10TailNumberE2EEEvNT_8ArgumentE: ; @_ZN2ck27kernel_gemm_xdl_cshuffle_v3INS_28GridwiseGemm_xdl_cshuffle_v3INS_13tensor_layout4gemm8RowMajorENS3_11ColumnMajorES4_NS_9f8_fnuz_tENS_7pk_i4_tEfDF16_DF16_NS_16tensor_operation12element_wise11PassThroughESA_SA_LNS8_6device18GemmSpecializationE0ELi256ELi128ELi128ELi128ELi16ELi16ELi16ELi16ELi4ELi2ENS_8SequenceIJLi8ELi32ELi1EEEENSD_IJLi1ELi0ELi2EEEESF_Li2ELi16ELi16ELb0ELi0ENSD_IJLi4ELi64ELi1EEEESF_SF_Li2ELi16ELi16ELb0ELi0ELi1ELi1ENSD_IJLi1ELi32ELi1ELi8EEEELi4ELNS_26BlockGemmPipelineSchedulerE1ELNS_24BlockGemmPipelineVersionE1ES6_S6_Lb0ELb1ELb0ELi0ELb0EEELb1ELNS_25InMemoryDataOperationEnumE1ELi2ELNS_10TailNumberE2EEEvNT_8ArgumentE
; %bb.0:
	s_clause 0x4
	s_load_b96 s[16:18], s[0:1], 0x20
	s_load_b96 s[20:22], s[0:1], 0x60
	s_load_b128 s[4:7], s[0:1], 0x10
	s_load_b32 s26, s[0:1], 0x3c
	s_load_b128 s[12:15], s[0:1], 0x50
	s_lshr_b32 s2, ttmp7, 16
	s_mov_b32 s8, ttmp9
	s_mov_b64 s[24:25], 0
	s_wait_kmcnt 0x0
	s_cmp_gt_i32 s18, 1
	s_cselect_b32 s3, -1, 0
	s_bitcmp1_b32 s22, 0
	s_cselect_b32 s9, -1, 0
	s_delay_alu instid0(SALU_CYCLE_1) | instskip(NEXT) | instid1(SALU_CYCLE_1)
	s_and_b32 s3, s3, s9
	s_and_not1_b32 vcc_lo, exec_lo, s3
	s_cbranch_vccnz .LBB5_2
; %bb.1:
	s_mul_i32 s3, s4, s2
	s_delay_alu instid0(SALU_CYCLE_1) | instskip(NEXT) | instid1(SALU_CYCLE_1)
	s_mul_i32 s24, s3, s5
	s_ashr_i32 s25, s24, 31
.LBB5_2:
	s_load_b32 s1, s[0:1], 0x34
	s_add_co_i32 s23, s4, -1
	s_mov_b32 s22, 0
	s_cmp_lt_u32 s23, 0x80
	s_cbranch_scc1 .LBB5_6
; %bb.3:
	s_add_co_i32 s0, s5, -1
	s_delay_alu instid0(SALU_CYCLE_1)
	s_cmp_lt_u32 s0, 0x80
	s_mov_b32 s0, 0
	s_cbranch_scc1 .LBB5_10
; %bb.4:
	s_add_co_i32 s0, s4, 0x7f
	s_add_co_i32 s3, s5, 0x7f
	s_ashr_i32 s9, s0, 31
	s_ashr_i32 s10, s3, 31
	s_lshr_b32 s9, s9, 25
	s_lshr_b32 s10, s10, 25
	s_add_co_i32 s0, s0, s9
	s_add_co_i32 s9, s3, s10
	s_ashr_i32 s3, s0, 7
	s_ashr_i32 s0, s9, 7
	;; [unrolled: 1-line block ×3, first 2 shown]
	s_mul_i32 s9, s0, s3
	s_delay_alu instid0(SALU_CYCLE_1) | instskip(NEXT) | instid1(SALU_CYCLE_1)
	s_add_co_i32 s10, s9, 7
	s_ashr_i32 s11, s10, 31
	s_delay_alu instid0(SALU_CYCLE_1) | instskip(NEXT) | instid1(SALU_CYCLE_1)
	s_lshr_b32 s11, s11, 29
	s_add_co_i32 s11, s10, s11
	s_lshr_b32 s10, s19, 29
	s_and_b32 s27, s11, -8
	s_add_co_i32 s19, s8, s10
	s_sub_co_i32 s9, s9, s27
	s_and_b32 s10, s19, -8
	s_add_co_i32 s9, s9, 8
	s_sub_co_i32 s10, s8, s10
	s_ashr_i32 s11, s11, 3
	s_cmp_gt_i32 s10, s9
	s_cbranch_scc1 .LBB5_7
; %bb.5:
	s_mul_i32 s8, s11, s10
	s_ashr_i32 s19, s19, 3
	s_cbranch_execz .LBB5_8
	s_branch .LBB5_9
.LBB5_6:
	s_mov_b32 s19, s22
	s_branch .LBB5_11
.LBB5_7:
                                        ; implicit-def: $sgpr8
	s_ashr_i32 s19, s19, 3
.LBB5_8:
	s_add_co_i32 s8, s11, -1
	s_delay_alu instid0(SALU_CYCLE_1) | instskip(NEXT) | instid1(SALU_CYCLE_1)
	s_mul_i32 s8, s8, s10
	s_add_co_i32 s8, s9, s8
.LBB5_9:
	s_abs_i32 s9, s0
	s_add_co_i32 s8, s8, s19
	s_cvt_f32_u32 s10, s9
	s_sub_co_i32 s11, 0, s9
	s_abs_i32 s19, s8
	s_delay_alu instid0(SALU_CYCLE_1) | instskip(NEXT) | instid1(TRANS32_DEP_1)
	v_rcp_iflag_f32_e32 v1, s10
	v_readfirstlane_b32 s10, v1
	s_mul_f32 s10, s10, 0x4f7ffffe
	s_wait_alu 0xfffe
	s_delay_alu instid0(SALU_CYCLE_2) | instskip(SKIP_1) | instid1(SALU_CYCLE_2)
	s_cvt_u32_f32 s10, s10
	s_wait_alu 0xfffe
	s_mul_i32 s11, s11, s10
	s_wait_alu 0xfffe
	s_mul_hi_u32 s11, s10, s11
	s_wait_alu 0xfffe
	s_add_co_i32 s10, s10, s11
	s_xor_b32 s11, s8, s0
	s_wait_alu 0xfffe
	s_mul_hi_u32 s10, s19, s10
	s_ashr_i32 s11, s11, 31
	s_wait_alu 0xfffe
	s_mul_i32 s27, s10, s9
	s_delay_alu instid0(SALU_CYCLE_1)
	s_sub_co_i32 s19, s19, s27
	s_add_co_i32 s27, s10, 1
	s_sub_co_i32 s28, s19, s9
	s_cmp_ge_u32 s19, s9
	s_cselect_b32 s10, s27, s10
	s_cselect_b32 s19, s28, s19
	s_wait_alu 0xfffe
	s_add_co_i32 s27, s10, 1
	s_cmp_ge_u32 s19, s9
	s_cselect_b32 s9, s27, s10
	s_lshr_b32 s10, s3, 30
	s_xor_b32 s9, s9, s11
	s_wait_alu 0xfffe
	s_add_co_i32 s10, s3, s10
	s_sub_co_i32 s9, s9, s11
	s_wait_alu 0xfffe
	s_and_b32 s10, s10, -4
	s_mul_i32 s11, s9, s0
	s_wait_alu 0xfffe
	s_sub_co_i32 s3, s3, s10
	s_sub_co_i32 s8, s8, s11
	s_cmp_ge_i32 s9, s10
	s_cselect_b32 s3, s3, 4
	s_ashr_i32 s19, s9, 31
	s_abs_i32 s10, s3
	s_lshr_b32 s19, s19, 30
	s_wait_alu 0xfffe
	s_cvt_f32_u32 s11, s10
	s_add_co_i32 s19, s9, s19
	s_sub_co_i32 s27, 0, s10
	s_and_b32 s19, s19, -4
	s_wait_alu 0xfffe
	v_rcp_iflag_f32_e32 v1, s11
	s_sub_co_i32 s19, s9, s19
	s_delay_alu instid0(SALU_CYCLE_1) | instskip(NEXT) | instid1(SALU_CYCLE_1)
	s_mul_i32 s0, s19, s0
	s_add_co_i32 s8, s0, s8
	s_delay_alu instid0(TRANS32_DEP_1) | instskip(SKIP_2) | instid1(SALU_CYCLE_2)
	v_readfirstlane_b32 s11, v1
	s_mul_f32 s11, s11, 0x4f7ffffe
	s_wait_alu 0xfffe
	s_cvt_u32_f32 s11, s11
	s_wait_alu 0xfffe
	s_delay_alu instid0(SALU_CYCLE_2) | instskip(NEXT) | instid1(SALU_CYCLE_1)
	s_mul_i32 s27, s27, s11
	s_mul_hi_u32 s0, s11, s27
	s_abs_i32 s27, s8
	s_add_co_i32 s11, s11, s0
	s_wait_alu 0xfffe
	s_mul_hi_u32 s0, s27, s11
	s_xor_b32 s11, s8, s3
	s_mul_i32 s28, s0, s10
	s_wait_alu 0xfffe
	s_ashr_i32 s11, s11, 31
	s_sub_co_i32 s27, s27, s28
	s_add_co_i32 s28, s0, 1
	s_sub_co_i32 s29, s27, s10
	s_cmp_ge_u32 s27, s10
	s_cselect_b32 s0, s28, s0
	s_cselect_b32 s27, s29, s27
	s_add_co_i32 s28, s0, 1
	s_cmp_ge_u32 s27, s10
	s_cselect_b32 s0, s28, s0
	s_wait_alu 0xfffe
	s_xor_b32 s0, s0, s11
	s_delay_alu instid0(SALU_CYCLE_1) | instskip(NEXT) | instid1(SALU_CYCLE_1)
	s_sub_co_i32 s0, s0, s11
	s_mul_i32 s3, s0, s3
	s_delay_alu instid0(SALU_CYCLE_1) | instskip(NEXT) | instid1(SALU_CYCLE_1)
	s_sub_co_i32 s3, s8, s3
	s_add_co_i32 s3, s3, s9
	s_delay_alu instid0(SALU_CYCLE_1)
	s_sub_co_i32 s8, s3, s19
.LBB5_10:
	s_delay_alu instid0(SALU_CYCLE_1)
	s_mov_b32 s19, s8
	s_mov_b32 s8, s0
.LBB5_11:
	v_lshlrev_b32_e32 v1, 1, v0
	s_wait_kmcnt 0x0
	s_mul_i32 s0, s1, s2
	s_add_co_i32 s3, s18, -1
	v_lshrrev_b32_e32 v169, 1, v0
	s_mul_i32 s9, s0, s5
	v_and_b32_e32 v174, 6, v1
	s_mul_i32 s27, s3, s1
	s_lshr_b32 s30, s9, 1
	s_sub_co_i32 s6, s6, s27
	s_cmp_lt_u32 s2, s3
	v_or_b32_e32 v1, 1, v174
	v_dual_mov_b32 v206, 2 :: v_dual_and_b32 v89, 0x7c, v169
	s_cselect_b32 s29, s1, s6
	s_lshl_b32 s6, s8, 7
	v_lshlrev_b32_e32 v3, 4, v174
	v_and_or_b32 v2, 0x7e, v169, s6
	v_sub_nc_u32_e32 v4, v1, v174
	v_lshl_or_b32 v91, s19, 7, v89
	v_dual_mov_b32 v179, 16 :: v_dual_and_b32 v90, 7, v0
	s_delay_alu instid0(VALU_DEP_4) | instskip(NEXT) | instid1(VALU_DEP_4)
	v_lshl_or_b32 v2, v2, 7, v3
	v_lshlrev_b32_e32 v3, 4, v4
	s_delay_alu instid0(VALU_DEP_4) | instskip(NEXT) | instid1(VALU_DEP_4)
	v_mul_lo_u32 v173, v91, s7
	v_lshlrev_b32_e32 v175, 4, v90
	s_ashr_i32 s2, s16, 31
	s_mov_b32 s10, s7
	v_add_nc_u32_e32 v4, v2, v3
	s_lshr_b32 s2, s2, 25
	s_mov_b32 s11, s22
	v_sub_nc_u32_e32 v1, v174, v1
	v_add_nc_u32_e32 v5, v173, v175
	v_dual_mov_b32 v17, 0 :: v_dual_add_nc_u32 v6, 0x80, v4
	s_add_co_i32 s2, s16, s2
	s_mov_b32 s28, s22
	s_wait_alu 0xfffe
	s_mul_u64 s[10:11], s[22:23], s[10:11]
	s_ashr_i32 s1, s0, 31
	s_mov_b32 s31, s22
	s_ashr_i32 s2, s2, 7
	v_ashrrev_i32_e32 v7, 1, v6
	s_mov_b32 s18, 0x31004000
	s_add_nc_u64 s[0:1], s[12:13], s[0:1]
	s_wait_alu 0xfffe
	s_add_nc_u64 s[12:13], s[28:29], s[10:11]
	s_add_nc_u64 s[8:9], s[14:15], s[30:31]
	s_mul_i32 s2, s5, s2
	v_dual_mov_b32 v41, 0 :: v_dual_add_nc_u32 v8, s7, v5
	v_lshlrev_b32_e32 v1, 4, v1
	s_mov_b32 s3, s18
	s_and_b32 s1, s1, 0xffff
	s_mov_b32 s11, s18
	s_and_b32 s9, s9, 0xffff
	s_lshl_b32 s10, s2, 6
	s_mov_b32 s2, s13
	buffer_load_b64 v[81:82], v7, s[8:11], null offen
	s_clause 0x1
	buffer_load_b128 v[49:52], v5, s[0:3], null offen
	buffer_load_b128 v[53:56], v8, s[0:3], null offen
	v_dual_mov_b32 v25, 0 :: v_dual_add_nc_u32 v6, v6, v1
	s_lshl_b32 s12, s5, 7
	v_add_nc_u32_e32 v9, s7, v8
	s_add_co_i32 s14, s12, 0xffffff80
	s_mul_i32 s15, s7, -3
	v_add_nc_u32_e32 v7, s14, v6
	v_ashrrev_i32_e32 v2, 1, v2
	v_add_nc_u32_e32 v5, s7, v9
	s_clause 0x1
	buffer_load_b128 v[57:60], v9, s[0:3], null offen
	buffer_load_b128 v[61:64], v5, s[0:3], null offen
	v_add_nc_u32_e32 v3, v7, v3
	v_add3_u32 v5, 0x80, s15, v5
	v_ashrrev_i32_e32 v6, 1, v6
	v_ashrrev_i32_e32 v4, 1, v4
	s_delay_alu instid0(VALU_DEP_4)
	v_dual_mov_b32 v33, 0 :: v_dual_add_nc_u32 v8, 0x80, v3
	s_clause 0x2
	buffer_load_b64 v[83:84], v2, s[8:11], null offen
	buffer_load_b64 v[85:86], v6, s[8:11], null offen
	;; [unrolled: 1-line block ×3, first 2 shown]
	v_lshrrev_b32_e32 v2, 31, v3
	v_ashrrev_i32_e32 v7, 1, v7
	v_lshrrev_b32_e32 v170, 3, v0
	v_add_nc_u32_e32 v92, v8, v1
	v_add_nc_u32_e32 v1, s7, v5
	v_lshrrev_b32_e32 v4, 31, v8
	v_add_nc_u32_e32 v2, v3, v2
	s_clause 0x1
	buffer_load_b128 v[69:72], v5, s[0:3], null offen
	buffer_load_b128 v[65:68], v1, s[0:3], null offen
	v_lshrrev_b32_e32 v6, 31, v92
	v_add_nc_u32_e32 v9, s7, v1
	v_add_nc_u32_e32 v3, v8, v4
	v_ashrrev_i32_e32 v2, 1, v2
	v_bfe_u32 v93, v0, 2, 4
	v_add_nc_u32_e32 v4, v92, v6
	v_add_nc_u32_e32 v1, s7, v9
	v_ashrrev_i32_e32 v3, 1, v3
	v_or_b32_e32 v98, 3, v169
	v_or_b32_e32 v113, 3, v91
	v_ashrrev_i32_e32 v4, 1, v4
	s_clause 0x1
	buffer_load_b128 v[73:76], v9, s[0:3], null offen
	buffer_load_b128 v[77:80], v1, s[0:3], null offen
	s_clause 0x3
	buffer_load_b64 v[145:146], v7, s[8:11], null offen
	buffer_load_b64 v[147:148], v2, s[8:11], null offen
	;; [unrolled: 1-line block ×4, first 2 shown]
	v_dual_mov_b32 v2, 0 :: v_dual_lshlrev_b32 v5, 2, v0
	v_and_b32_e32 v4, 15, v0
	v_dual_mov_b32 v1, 0 :: v_dual_and_b32 v94, 4, v169
	s_delay_alu instid0(VALU_DEP_3) | instskip(NEXT) | instid1(VALU_DEP_4)
	v_mov_b32_e32 v30, v2
	v_dual_mov_b32 v13, v2 :: v_dual_and_b32 v96, 64, v5
	v_mov_b32_e32 v7, v2
	v_and_or_b32 v171, v170, 16, v4
	v_mov_b32_e32 v11, v2
	s_delay_alu instid0(VALU_DEP_4)
	v_lshrrev_b32_e32 v101, 4, v96
	v_or_b32_e32 v104, 1, v94
	v_dual_mov_b32 v45, v2 :: v_dual_lshlrev_b32 v100, 1, v174
	v_dual_mov_b32 v47, v2 :: v_dual_lshlrev_b32 v102, 7, v171
	v_xor_b32_e32 v99, v94, v90
	v_xor_b32_e32 v107, v101, v90
	;; [unrolled: 1-line block ×3, first 2 shown]
	v_lshrrev_b32_e32 v3, 2, v0
	v_and_or_b32 v97, v169, 48, v4
	v_lshrrev_b32_e32 v96, 3, v96
	v_or_b32_e32 v105, 2, v94
	v_or_b32_e32 v94, 3, v94
	v_xor_b32_e32 v106, v100, v93
	v_or_b32_e32 v108, 1, v100
	v_or_b32_e32 v109, 3, v100
	;; [unrolled: 1-line block ×6, first 2 shown]
	v_lshl_or_b32 v183, v107, 4, v102
	v_sub_nc_u32_e32 v102, v104, v99
	v_dual_mov_b32 v32, v2 :: v_dual_lshlrev_b32 v95, 8, v3
	v_lshlrev_b32_e32 v89, 7, v89
	v_lshrrev_b32_e32 v103, 1, v97
	v_bfe_u32 v97, v97, 1, 4
	v_and_or_b32 v96, v0, 1, v96
	v_xor_b32_e32 v105, v105, v90
	v_xor_b32_e32 v94, v94, v90
	;; [unrolled: 1-line block ×8, first 2 shown]
	v_sub_nc_u32_e32 v110, v110, v101
	v_sub_nc_u32_e32 v111, v111, v101
	;; [unrolled: 1-line block ×3, first 2 shown]
	v_lshlrev_b32_e32 v191, 4, v102
	v_xor_b32_e32 v98, v98, v0
	v_lshl_or_b32 v89, v99, 4, v89
	v_lshl_or_b32 v207, v106, 4, v95
	v_xor_b32_e32 v95, v97, v96
	v_mul_lo_u32 v187, s7, v113
	v_sub_nc_u32_e32 v112, v93, v106
	v_sub_nc_u32_e32 v100, v100, v107
	;; [unrolled: 1-line block ×4, first 2 shown]
	v_lshl_add_u32 v107, v110, 1, v96
	v_lshl_add_u32 v110, v111, 1, v96
	;; [unrolled: 1-line block ×3, first 2 shown]
	v_sub_nc_u32_e32 v101, v93, v109
	v_sub_nc_u32_e32 v93, v106, v93
	v_dual_mov_b32 v35, v2 :: v_dual_add_nc_u32 v198, 0x80, v191
	v_and_b32_e32 v98, 7, v98
	v_lshlrev_b32_e32 v103, 8, v103
	v_or_b32_e32 v91, 2, v91
	v_lshlrev_b32_e32 v202, 4, v93
	v_add_nc_u32_e32 v93, v198, v89
	v_sub_nc_u32_e32 v104, v105, v104
	v_sub_nc_u32_e32 v114, v94, v105
	;; [unrolled: 1-line block ×4, first 2 shown]
	v_mul_lo_u32 v189, s7, v91
	v_lshl_add_u32 v194, v104, 4, 0x80
	v_sub_nc_u32_e32 v104, v109, v106
	v_xor_b32_e32 v96, v96, v97
	v_lshl_add_u32 v197, v98, 4, 0xfffffe80
	v_sub_nc_u32_e32 v98, v109, v108
	v_sub_nc_u32_e32 v94, v99, v94
	v_lshlrev_b32_e32 v99, 4, v114
	v_lshl_add_u32 v196, v105, 4, 0x80
	v_lshlrev_b32_e32 v100, 4, v100
	v_lshlrev_b32_e32 v105, 4, v113
	;; [unrolled: 1-line block ×4, first 2 shown]
	v_dual_mov_b32 v39, v2 :: v_dual_lshlrev_b32 v94, 4, v94
	s_delay_alu instid0(VALU_DEP_4)
	v_add_nc_u32_e32 v192, v105, v183
	v_lshlrev_b32_e32 v90, 4, v90
	v_or3_b32 v180, 0, 0, 0
	v_dual_mov_b32 v3, v2 :: v_dual_add_nc_u32 v208, s14, v92
	s_ashr_i32 s2, s26, 31
	v_lshrrev_b32_e32 v102, 1, v207
	s_lshr_b32 s2, s2, 29
	v_mov_b32_e32 v9, 0
	s_add_co_i32 s26, s26, s2
	v_dual_mov_b32 v4, v2 :: v_dual_mov_b32 v5, v2
	v_mov_b32_e32 v6, v2
	v_mov_b32_e32 v8, v2
	;; [unrolled: 1-line block ×4, first 2 shown]
	v_dual_mov_b32 v14, v2 :: v_dual_mov_b32 v15, v2
	v_mov_b32_e32 v42, v2
	v_mov_b32_e32 v16, v2
	v_dual_mov_b32 v18, v2 :: v_dual_mov_b32 v19, v2
	v_mov_b32_e32 v44, v2
	v_dual_mov_b32 v20, v2 :: v_dual_mov_b32 v21, v2
	;; [unrolled: 2-line block ×3, first 2 shown]
	v_mov_b32_e32 v48, v2
	v_mov_b32_e32 v24, v2
	v_dual_mov_b32 v26, v2 :: v_dual_mov_b32 v27, v2
	v_mov_b32_e32 v34, v2
	v_dual_mov_b32 v28, v2 :: v_dual_mov_b32 v29, v2
	v_dual_mov_b32 v36, v2 :: v_dual_mov_b32 v31, v2
	;; [unrolled: 1-line block ×4, first 2 shown]
	v_add_nc_u32_e32 v190, s7, v173
	v_or_b32_e32 v185, 16, v174
	v_or_b32_e32 v186, 17, v174
	s_mov_b32 s2, s13
	s_ashr_i32 s13, s26, 3
	s_mov_b32 s7, s22
	s_add_co_i32 s13, s13, -2
	s_wait_loadcnt 0xe
	ds_store_b128 v89, v[49:52]
	s_wait_loadcnt 0xd
	ds_store_b128 v93, v[53:56]
	v_mov_b32_e32 v52, v2
	v_lshl_or_b32 v91, v95, 4, v103
	v_sub_nc_u32_e32 v103, v108, v106
	v_xor_b32_e32 v106, v107, v97
	v_xor_b32_e32 v107, v110, v97
	v_mov_b32_e32 v51, v2
	v_add_nc_u32_e32 v98, v198, v194
	v_lshlrev_b32_e32 v199, 4, v103
	v_sub_nc_u32_e32 v106, v106, v95
	v_sub_nc_u32_e32 v107, v107, v95
	;; [unrolled: 1-line block ×3, first 2 shown]
	v_or_b32_e32 v97, 0x2000, v91
	v_add_nc_u32_e32 v101, v199, v207
	v_mov_b32_e32 v53, v2
	v_add_nc_u32_e32 v195, v100, v183
	v_lshlrev_b32_e32 v105, 4, v107
	v_lshlrev_b32_e32 v95, 4, v95
	v_ashrrev_i32_e32 v100, 1, v101
	v_dual_mov_b32 v56, v2 :: v_dual_lshlrev_b32 v101, 4, v106
	v_add3_u32 v96, v98, v89, v99
	v_lshrrev_b32_e32 v188, 1, v91
	v_dual_mov_b32 v55, v2 :: v_dual_and_b32 v92, 0xff, v82
	v_add_nc_u32_e32 v193, v90, v183
	s_delay_alu instid0(VALU_DEP_4)
	v_add3_u32 v203, v96, v94, 0xffffff00
	v_add_nc_u32_e32 v94, v101, v91
	v_add_nc_u32_e32 v96, v105, v91
	;; [unrolled: 1-line block ×5, first 2 shown]
	v_ashrrev_i32_e32 v184, 1, v94
	v_and_b32_e32 v94, 0xff0000, v81
	v_ashrrev_i32_e32 v181, 1, v91
	v_ashrrev_i32_e32 v172, 1, v95
	v_and_b32_e32 v91, 0xffff0000, v82
	v_and_b32_e32 v82, 0xff00, v82
	;; [unrolled: 1-line block ×3, first 2 shown]
	v_lshl_add_u32 v103, v104, 4, v207
	v_ashrrev_i32_e32 v182, 1, v96
	v_and_b32_e32 v96, 0xff00, v81
	v_and_b32_e32 v81, 0xff, v81
	v_or3_b32 v82, v82, v91, v92
	v_or3_b32 v91, v180, v95, v94
	v_lshl_add_u32 v104, v112, 4, v207
	v_add3_u32 v98, v98, v196, v197
	v_add_nc_u32_e32 v101, v101, v97
	v_add_nc_u32_e32 v105, v105, v97
	;; [unrolled: 1-line block ×3, first 2 shown]
	v_ashrrev_i32_e32 v103, 1, v103
	v_or3_b32 v50, v82, 0, 0
	v_or3_b32 v49, v91, v96, v81
	v_ashrrev_i32_e32 v104, 1, v104
	v_lshrrev_b32_e32 v178, 1, v97
	v_add_nc_u32_e32 v204, v98, v98
	v_ashrrev_i32_e32 v177, 1, v101
	v_ashrrev_i32_e32 v176, 1, v105
	s_wait_loadcnt 0xc
	ds_store_b128 v90, v[57:60]
	s_wait_loadcnt 0xb
	ds_store_b128 v99, v[61:64] offset:128
	s_wait_loadcnt 0xa
	ds_store_b64 v102, v[83:84] offset:16384
	s_wait_loadcnt 0x9
	ds_store_b64 v100, v[85:86] offset:16384
	ds_store_b64 v103, v[49:50] offset:16384
	v_dual_mov_b32 v49, 0 :: v_dual_mov_b32 v50, v2
	v_dual_mov_b32 v54, v2 :: v_dual_mov_b32 v57, 0
	;; [unrolled: 1-line block ×5, first 2 shown]
	v_mov_b32_e32 v64, v2
	s_wait_loadcnt 0x8
	ds_store_b64 v104, v[87:88] offset:16384
.LBB5_12:                               ; =>This Inner Loop Header: Depth=1
	s_wait_dscnt 0x0
	s_barrier_signal -1
	s_barrier_wait -1
	ds_load_b128 v[133:136], v183
	ds_load_b128 v[125:128], v195
	;; [unrolled: 1-line block ×4, first 2 shown]
	ds_load_b128 v[137:140], v183 offset:4096
	ds_load_b128 v[113:116], v195 offset:4096
	;; [unrolled: 1-line block ×12, first 2 shown]
	ds_load_b64 v[156:157], v188 offset:16384
	v_add_nc_u32_e32 v205, v175, v173
	s_wait_dscnt 0x0
	;;#ASMSTART
	v_cvt_off_f32_i4 v154, v156
	;;#ASMEND
	v_ashrrev_i32_e32 v153, 16, v156
	;;#ASMSTART
	v_cvt_off_f32_i4 v155, v153
	;;#ASMEND
	v_mov_b32_e32 v153, 0
	s_delay_alu instid0(VALU_DEP_1)
	v_cvt_pk_fp8_f32 v153, v154, v155
	v_ashrrev_i32_e32 v154, 8, v156
	;;#ASMSTART
	v_cvt_off_f32_i4 v155, v154
	;;#ASMEND
	v_ashrrev_i32_e32 v154, 24, v156
	;;#ASMSTART
	v_cvt_off_f32_i4 v158, v154
	;;#ASMEND
	v_mov_b32_e32 v154, 0
	s_delay_alu instid0(VALU_DEP_1) | instskip(SKIP_4) | instid1(VALU_DEP_1)
	v_cvt_pk_fp8_f32 v154, v155, v158
	v_ashrrev_i32_e32 v155, 4, v156
	;;#ASMSTART
	v_cvt_off_f32_i4 v155, v155
	;;#ASMEND
	v_ashrrev_i32_e32 v158, 20, v156
	;;#ASMSTART
	v_cvt_off_f32_i4 v158, v158
	;;#ASMEND
	v_cvt_pk_fp8_f32 v153, v155, v158 op_sel:[0,0,1]
	v_ashrrev_i32_e32 v155, 12, v156
	;;#ASMSTART
	v_cvt_off_f32_i4 v155, v155
	;;#ASMEND
	v_ashrrev_i32_e32 v156, 28, v156
	;;#ASMSTART
	v_cvt_off_f32_i4 v156, v156
	;;#ASMEND
	s_delay_alu instid0(VALU_DEP_1) | instskip(SKIP_4) | instid1(VALU_DEP_1)
	v_cvt_pk_fp8_f32 v154, v155, v156 op_sel:[0,0,1]
	v_ashrrev_i32_e32 v155, 16, v157
	;;#ASMSTART
	v_cvt_off_f32_i4 v156, v157
	;;#ASMEND
	;;#ASMSTART
	v_cvt_off_f32_i4 v158, v155
	;;#ASMEND
	v_mov_b32_e32 v155, 0
	v_cvt_pk_fp8_f32 v155, v156, v158
	v_ashrrev_i32_e32 v156, 8, v157
	;;#ASMSTART
	v_cvt_off_f32_i4 v158, v156
	;;#ASMEND
	v_ashrrev_i32_e32 v156, 24, v157
	;;#ASMSTART
	v_cvt_off_f32_i4 v159, v156
	;;#ASMEND
	v_mov_b32_e32 v156, 0
	s_delay_alu instid0(VALU_DEP_1) | instskip(SKIP_4) | instid1(VALU_DEP_1)
	v_cvt_pk_fp8_f32 v156, v158, v159
	v_ashrrev_i32_e32 v158, 4, v157
	;;#ASMSTART
	v_cvt_off_f32_i4 v158, v158
	;;#ASMEND
	v_ashrrev_i32_e32 v159, 20, v157
	;;#ASMSTART
	v_cvt_off_f32_i4 v159, v159
	;;#ASMEND
	v_cvt_pk_fp8_f32 v155, v158, v159 op_sel:[0,0,1]
	v_ashrrev_i32_e32 v158, 12, v157
	v_ashrrev_i32_e32 v157, 28, v157
	;;#ASMSTART
	v_cvt_off_f32_i4 v158, v158
	;;#ASMEND
	;;#ASMSTART
	v_cvt_off_f32_i4 v157, v157
	;;#ASMEND
	ds_load_b64 v[159:160], v184 offset:16384
	v_cvt_pk_fp8_f32 v156, v158, v157 op_sel:[0,0,1]
	s_wait_dscnt 0x0
	;;#ASMSTART
	v_cvt_off_f32_i4 v158, v159
	;;#ASMEND
	v_ashrrev_i32_e32 v157, 16, v159
	;;#ASMSTART
	v_cvt_off_f32_i4 v161, v157
	;;#ASMEND
	v_mov_b32_e32 v157, 0
	s_delay_alu instid0(VALU_DEP_1)
	v_cvt_pk_fp8_f32 v157, v158, v161
	v_ashrrev_i32_e32 v158, 8, v159
	;;#ASMSTART
	v_cvt_off_f32_i4 v161, v158
	;;#ASMEND
	v_ashrrev_i32_e32 v158, 24, v159
	;;#ASMSTART
	v_cvt_off_f32_i4 v162, v158
	;;#ASMEND
	v_mov_b32_e32 v158, 0
	s_delay_alu instid0(VALU_DEP_1) | instskip(SKIP_4) | instid1(VALU_DEP_1)
	v_cvt_pk_fp8_f32 v158, v161, v162
	v_ashrrev_i32_e32 v161, 4, v159
	;;#ASMSTART
	v_cvt_off_f32_i4 v161, v161
	;;#ASMEND
	v_ashrrev_i32_e32 v162, 20, v159
	;;#ASMSTART
	v_cvt_off_f32_i4 v162, v162
	;;#ASMEND
	v_cvt_pk_fp8_f32 v157, v161, v162 op_sel:[0,0,1]
	v_ashrrev_i32_e32 v161, 12, v159
	;;#ASMSTART
	v_cvt_off_f32_i4 v161, v161
	;;#ASMEND
	v_ashrrev_i32_e32 v159, 28, v159
	;;#ASMSTART
	v_cvt_off_f32_i4 v159, v159
	;;#ASMEND
	s_delay_alu instid0(VALU_DEP_1) | instskip(SKIP_4) | instid1(VALU_DEP_1)
	v_cvt_pk_fp8_f32 v158, v161, v159 op_sel:[0,0,1]
	v_ashrrev_i32_e32 v161, 16, v160
	;;#ASMSTART
	v_cvt_off_f32_i4 v159, v160
	;;#ASMEND
	;;#ASMSTART
	v_cvt_off_f32_i4 v162, v161
	;;#ASMEND
	v_mov_b32_e32 v161, 0
	v_cvt_pk_fp8_f32 v161, v159, v162
	v_ashrrev_i32_e32 v159, 8, v160
	v_ashrrev_i32_e32 v162, 24, v160
	;;#ASMSTART
	v_cvt_off_f32_i4 v159, v159
	;;#ASMEND
	;;#ASMSTART
	v_cvt_off_f32_i4 v163, v162
	;;#ASMEND
	v_mov_b32_e32 v162, 0
	s_delay_alu instid0(VALU_DEP_1) | instskip(SKIP_4) | instid1(VALU_DEP_1)
	v_cvt_pk_fp8_f32 v162, v159, v163
	v_ashrrev_i32_e32 v159, 4, v160
	;;#ASMSTART
	v_cvt_off_f32_i4 v159, v159
	;;#ASMEND
	v_ashrrev_i32_e32 v163, 20, v160
	;;#ASMSTART
	v_cvt_off_f32_i4 v163, v163
	;;#ASMEND
	v_cvt_pk_fp8_f32 v161, v159, v163 op_sel:[0,0,1]
	v_ashrrev_i32_e32 v159, 12, v160
	v_ashrrev_i32_e32 v160, 28, v160
	;;#ASMSTART
	v_cvt_off_f32_i4 v159, v159
	;;#ASMEND
	;;#ASMSTART
	v_cvt_off_f32_i4 v160, v160
	;;#ASMEND
	ds_load_b64 v[164:165], v182 offset:16384
	v_cvt_pk_fp8_f32 v162, v159, v160 op_sel:[0,0,1]
	s_wait_dscnt 0x0
	;;#ASMSTART
	v_cvt_off_f32_i4 v160, v164
	;;#ASMEND
	v_ashrrev_i32_e32 v159, 16, v164
	;;#ASMSTART
	v_cvt_off_f32_i4 v163, v159
	;;#ASMEND
	v_mov_b32_e32 v159, 0
	s_delay_alu instid0(VALU_DEP_1)
	v_cvt_pk_fp8_f32 v159, v160, v163
	v_ashrrev_i32_e32 v160, 8, v164
	;;#ASMSTART
	v_cvt_off_f32_i4 v163, v160
	;;#ASMEND
	v_ashrrev_i32_e32 v160, 24, v164
	;;#ASMSTART
	v_cvt_off_f32_i4 v166, v160
	;;#ASMEND
	v_mov_b32_e32 v160, 0
	s_delay_alu instid0(VALU_DEP_1) | instskip(SKIP_4) | instid1(VALU_DEP_1)
	v_cvt_pk_fp8_f32 v160, v163, v166
	v_ashrrev_i32_e32 v163, 4, v164
	;;#ASMSTART
	v_cvt_off_f32_i4 v163, v163
	;;#ASMEND
	v_ashrrev_i32_e32 v166, 20, v164
	;;#ASMSTART
	v_cvt_off_f32_i4 v166, v166
	;;#ASMEND
	v_cvt_pk_fp8_f32 v159, v163, v166 op_sel:[0,0,1]
	v_ashrrev_i32_e32 v163, 12, v164
	;;#ASMSTART
	v_cvt_off_f32_i4 v163, v163
	;;#ASMEND
	v_ashrrev_i32_e32 v164, 28, v164
	;;#ASMSTART
	v_cvt_off_f32_i4 v164, v164
	;;#ASMEND
	s_delay_alu instid0(VALU_DEP_1) | instskip(SKIP_4) | instid1(VALU_DEP_1)
	v_cvt_pk_fp8_f32 v160, v163, v164 op_sel:[0,0,1]
	v_ashrrev_i32_e32 v163, 16, v165
	;;#ASMSTART
	v_cvt_off_f32_i4 v164, v165
	;;#ASMEND
	;;#ASMSTART
	v_cvt_off_f32_i4 v166, v163
	;;#ASMEND
	v_mov_b32_e32 v163, 0
	v_cvt_pk_fp8_f32 v163, v164, v166
	v_ashrrev_i32_e32 v164, 8, v165
	;;#ASMSTART
	v_cvt_off_f32_i4 v166, v164
	;;#ASMEND
	v_ashrrev_i32_e32 v164, 24, v165
	;;#ASMSTART
	v_cvt_off_f32_i4 v167, v164
	;;#ASMEND
	v_mov_b32_e32 v164, 0
	s_delay_alu instid0(VALU_DEP_1) | instskip(SKIP_4) | instid1(VALU_DEP_1)
	v_cvt_pk_fp8_f32 v164, v166, v167
	v_ashrrev_i32_e32 v166, 4, v165
	;;#ASMSTART
	v_cvt_off_f32_i4 v166, v166
	;;#ASMEND
	v_ashrrev_i32_e32 v167, 20, v165
	;;#ASMSTART
	v_cvt_off_f32_i4 v167, v167
	;;#ASMEND
	v_cvt_pk_fp8_f32 v163, v166, v167 op_sel:[0,0,1]
	v_ashrrev_i32_e32 v166, 12, v165
	v_ashrrev_i32_e32 v165, 28, v165
	;;#ASMSTART
	v_cvt_off_f32_i4 v166, v166
	;;#ASMEND
	;;#ASMSTART
	v_cvt_off_f32_i4 v165, v165
	;;#ASMEND
	ds_load_b64 v[209:210], v181 offset:16384
	v_cvt_pk_fp8_f32 v164, v166, v165 op_sel:[0,0,1]
	s_wait_dscnt 0x0
	;;#ASMSTART
	v_cvt_off_f32_i4 v166, v209
	;;#ASMEND
	v_ashrrev_i32_e32 v165, 16, v209
	;;#ASMSTART
	v_cvt_off_f32_i4 v167, v165
	;;#ASMEND
	v_mov_b32_e32 v165, 0
	s_delay_alu instid0(VALU_DEP_1)
	v_cvt_pk_fp8_f32 v165, v166, v167
	v_ashrrev_i32_e32 v166, 8, v209
	;;#ASMSTART
	v_cvt_off_f32_i4 v167, v166
	;;#ASMEND
	v_ashrrev_i32_e32 v166, 24, v209
	;;#ASMSTART
	v_cvt_off_f32_i4 v168, v166
	;;#ASMEND
	v_mov_b32_e32 v166, 0
	s_delay_alu instid0(VALU_DEP_1) | instskip(SKIP_4) | instid1(VALU_DEP_1)
	v_cvt_pk_fp8_f32 v166, v167, v168
	v_ashrrev_i32_e32 v167, 4, v209
	;;#ASMSTART
	v_cvt_off_f32_i4 v167, v167
	;;#ASMEND
	v_ashrrev_i32_e32 v168, 20, v209
	;;#ASMSTART
	v_cvt_off_f32_i4 v168, v168
	;;#ASMEND
	v_cvt_pk_fp8_f32 v165, v167, v168 op_sel:[0,0,1]
	v_ashrrev_i32_e32 v167, 12, v209
	;;#ASMSTART
	v_cvt_off_f32_i4 v167, v167
	;;#ASMEND
	v_ashrrev_i32_e32 v168, 28, v209
	;;#ASMSTART
	v_cvt_off_f32_i4 v168, v168
	;;#ASMEND
	s_delay_alu instid0(VALU_DEP_1) | instskip(SKIP_4) | instid1(VALU_DEP_1)
	v_cvt_pk_fp8_f32 v166, v167, v168 op_sel:[0,0,1]
	v_ashrrev_i32_e32 v167, 16, v210
	;;#ASMSTART
	v_cvt_off_f32_i4 v168, v210
	;;#ASMEND
	;;#ASMSTART
	v_cvt_off_f32_i4 v209, v167
	;;#ASMEND
	v_mov_b32_e32 v167, 0
	v_cvt_pk_fp8_f32 v167, v168, v209
	v_ashrrev_i32_e32 v168, 8, v210
	;;#ASMSTART
	v_cvt_off_f32_i4 v209, v168
	;;#ASMEND
	v_ashrrev_i32_e32 v168, 24, v210
	;;#ASMSTART
	v_cvt_off_f32_i4 v211, v168
	;;#ASMEND
	v_mov_b32_e32 v168, 0
	s_delay_alu instid0(VALU_DEP_1) | instskip(SKIP_4) | instid1(VALU_DEP_1)
	v_cvt_pk_fp8_f32 v168, v209, v211
	v_ashrrev_i32_e32 v209, 4, v210
	;;#ASMSTART
	v_cvt_off_f32_i4 v209, v209
	;;#ASMEND
	v_ashrrev_i32_e32 v211, 20, v210
	;;#ASMSTART
	v_cvt_off_f32_i4 v211, v211
	;;#ASMEND
	v_cvt_pk_fp8_f32 v167, v209, v211 op_sel:[0,0,1]
	v_ashrrev_i32_e32 v209, 12, v210
	v_ashrrev_i32_e32 v210, 28, v210
	;;#ASMSTART
	v_cvt_off_f32_i4 v209, v209
	;;#ASMEND
	;;#ASMSTART
	v_cvt_off_f32_i4 v210, v210
	;;#ASMEND
	s_delay_alu instid0(VALU_DEP_1)
	v_cvt_pk_fp8_f32 v168, v209, v210 op_sel:[0,0,1]
	ds_load_b64 v[209:210], v178 offset:16384
	s_wait_dscnt 0x0
	;;#ASMSTART
	v_cvt_off_f32_i4 v212, v209
	;;#ASMEND
	v_ashrrev_i32_e32 v211, 16, v209
	;;#ASMSTART
	v_cvt_off_f32_i4 v213, v211
	;;#ASMEND
	v_mov_b32_e32 v211, 0
	s_delay_alu instid0(VALU_DEP_1)
	v_cvt_pk_fp8_f32 v211, v212, v213
	v_ashrrev_i32_e32 v212, 8, v209
	;;#ASMSTART
	v_cvt_off_f32_i4 v213, v212
	;;#ASMEND
	v_ashrrev_i32_e32 v212, 24, v209
	;;#ASMSTART
	v_cvt_off_f32_i4 v214, v212
	;;#ASMEND
	v_mov_b32_e32 v212, 0
	s_delay_alu instid0(VALU_DEP_1) | instskip(SKIP_4) | instid1(VALU_DEP_1)
	v_cvt_pk_fp8_f32 v212, v213, v214
	v_ashrrev_i32_e32 v213, 4, v209
	;;#ASMSTART
	v_cvt_off_f32_i4 v213, v213
	;;#ASMEND
	v_ashrrev_i32_e32 v214, 20, v209
	;;#ASMSTART
	v_cvt_off_f32_i4 v214, v214
	;;#ASMEND
	v_cvt_pk_fp8_f32 v211, v213, v214 op_sel:[0,0,1]
	v_ashrrev_i32_e32 v213, 12, v209
	;;#ASMSTART
	v_cvt_off_f32_i4 v213, v213
	;;#ASMEND
	v_ashrrev_i32_e32 v209, 28, v209
	;;#ASMSTART
	v_cvt_off_f32_i4 v209, v209
	;;#ASMEND
	s_delay_alu instid0(VALU_DEP_1) | instskip(SKIP_4) | instid1(VALU_DEP_1)
	v_cvt_pk_fp8_f32 v212, v213, v209 op_sel:[0,0,1]
	v_ashrrev_i32_e32 v213, 16, v210
	;;#ASMSTART
	v_cvt_off_f32_i4 v209, v210
	;;#ASMEND
	;;#ASMSTART
	v_cvt_off_f32_i4 v214, v213
	;;#ASMEND
	v_mov_b32_e32 v213, 0
	v_cvt_pk_fp8_f32 v213, v209, v214
	v_ashrrev_i32_e32 v209, 8, v210
	v_ashrrev_i32_e32 v214, 24, v210
	;;#ASMSTART
	v_cvt_off_f32_i4 v209, v209
	;;#ASMEND
	;;#ASMSTART
	v_cvt_off_f32_i4 v215, v214
	;;#ASMEND
	v_mov_b32_e32 v214, 0
	s_delay_alu instid0(VALU_DEP_1) | instskip(SKIP_4) | instid1(VALU_DEP_1)
	v_cvt_pk_fp8_f32 v214, v209, v215
	v_ashrrev_i32_e32 v209, 4, v210
	;;#ASMSTART
	v_cvt_off_f32_i4 v209, v209
	;;#ASMEND
	v_ashrrev_i32_e32 v215, 20, v210
	;;#ASMSTART
	v_cvt_off_f32_i4 v215, v215
	;;#ASMEND
	v_cvt_pk_fp8_f32 v213, v209, v215 op_sel:[0,0,1]
	v_ashrrev_i32_e32 v209, 12, v210
	v_ashrrev_i32_e32 v210, 28, v210
	;;#ASMSTART
	v_cvt_off_f32_i4 v209, v209
	;;#ASMEND
	;;#ASMSTART
	v_cvt_off_f32_i4 v210, v210
	;;#ASMEND
	s_delay_alu instid0(VALU_DEP_1)
	v_cvt_pk_fp8_f32 v214, v209, v210 op_sel:[0,0,1]
	ds_load_b64 v[209:210], v177 offset:16384
	s_wait_dscnt 0x0
	;;#ASMSTART
	v_cvt_off_f32_i4 v216, v209
	;;#ASMEND
	v_ashrrev_i32_e32 v215, 16, v209
	;;#ASMSTART
	v_cvt_off_f32_i4 v217, v215
	;;#ASMEND
	v_mov_b32_e32 v215, 0
	s_delay_alu instid0(VALU_DEP_1)
	v_cvt_pk_fp8_f32 v215, v216, v217
	v_ashrrev_i32_e32 v216, 8, v209
	;;#ASMSTART
	v_cvt_off_f32_i4 v217, v216
	;;#ASMEND
	v_ashrrev_i32_e32 v216, 24, v209
	;;#ASMSTART
	v_cvt_off_f32_i4 v218, v216
	;;#ASMEND
	v_mov_b32_e32 v216, 0
	s_delay_alu instid0(VALU_DEP_1) | instskip(SKIP_4) | instid1(VALU_DEP_1)
	v_cvt_pk_fp8_f32 v216, v217, v218
	v_ashrrev_i32_e32 v217, 4, v209
	;;#ASMSTART
	v_cvt_off_f32_i4 v217, v217
	;;#ASMEND
	v_ashrrev_i32_e32 v218, 20, v209
	;;#ASMSTART
	v_cvt_off_f32_i4 v218, v218
	;;#ASMEND
	v_cvt_pk_fp8_f32 v215, v217, v218 op_sel:[0,0,1]
	v_ashrrev_i32_e32 v217, 12, v209
	;;#ASMSTART
	v_cvt_off_f32_i4 v217, v217
	;;#ASMEND
	v_ashrrev_i32_e32 v209, 28, v209
	;;#ASMSTART
	v_cvt_off_f32_i4 v209, v209
	;;#ASMEND
	s_delay_alu instid0(VALU_DEP_1) | instskip(SKIP_4) | instid1(VALU_DEP_1)
	v_cvt_pk_fp8_f32 v216, v217, v209 op_sel:[0,0,1]
	v_ashrrev_i32_e32 v217, 16, v210
	;;#ASMSTART
	v_cvt_off_f32_i4 v209, v210
	;;#ASMEND
	;;#ASMSTART
	v_cvt_off_f32_i4 v218, v217
	;;#ASMEND
	v_mov_b32_e32 v217, 0
	v_cvt_pk_fp8_f32 v217, v209, v218
	v_ashrrev_i32_e32 v209, 8, v210
	v_ashrrev_i32_e32 v218, 24, v210
	;;#ASMSTART
	v_cvt_off_f32_i4 v209, v209
	;;#ASMEND
	;;#ASMSTART
	v_cvt_off_f32_i4 v219, v218
	;;#ASMEND
	v_mov_b32_e32 v218, 0
	s_delay_alu instid0(VALU_DEP_1) | instskip(SKIP_4) | instid1(VALU_DEP_1)
	v_cvt_pk_fp8_f32 v218, v209, v219
	v_ashrrev_i32_e32 v209, 4, v210
	;;#ASMSTART
	v_cvt_off_f32_i4 v209, v209
	;;#ASMEND
	v_ashrrev_i32_e32 v219, 20, v210
	;;#ASMSTART
	v_cvt_off_f32_i4 v219, v219
	;;#ASMEND
	v_cvt_pk_fp8_f32 v217, v209, v219 op_sel:[0,0,1]
	v_ashrrev_i32_e32 v209, 12, v210
	v_ashrrev_i32_e32 v210, 28, v210
	;;#ASMSTART
	v_cvt_off_f32_i4 v209, v209
	;;#ASMEND
	;;#ASMSTART
	v_cvt_off_f32_i4 v210, v210
	;;#ASMEND
	s_delay_alu instid0(VALU_DEP_1)
	v_cvt_pk_fp8_f32 v218, v209, v210 op_sel:[0,0,1]
	ds_load_b64 v[209:210], v176 offset:16384
	s_wait_dscnt 0x0
	;;#ASMSTART
	v_cvt_off_f32_i4 v220, v209
	;;#ASMEND
	v_ashrrev_i32_e32 v219, 16, v209
	;;#ASMSTART
	v_cvt_off_f32_i4 v221, v219
	;;#ASMEND
	v_mov_b32_e32 v219, 0
	s_delay_alu instid0(VALU_DEP_1)
	v_cvt_pk_fp8_f32 v219, v220, v221
	v_ashrrev_i32_e32 v220, 8, v209
	;;#ASMSTART
	v_cvt_off_f32_i4 v221, v220
	;;#ASMEND
	v_ashrrev_i32_e32 v220, 24, v209
	;;#ASMSTART
	v_cvt_off_f32_i4 v222, v220
	;;#ASMEND
	v_mov_b32_e32 v220, 0
	s_delay_alu instid0(VALU_DEP_1) | instskip(SKIP_4) | instid1(VALU_DEP_1)
	v_cvt_pk_fp8_f32 v220, v221, v222
	v_ashrrev_i32_e32 v221, 4, v209
	;;#ASMSTART
	v_cvt_off_f32_i4 v221, v221
	;;#ASMEND
	v_ashrrev_i32_e32 v222, 20, v209
	;;#ASMSTART
	v_cvt_off_f32_i4 v222, v222
	;;#ASMEND
	v_cvt_pk_fp8_f32 v219, v221, v222 op_sel:[0,0,1]
	v_ashrrev_i32_e32 v221, 12, v209
	;;#ASMSTART
	v_cvt_off_f32_i4 v221, v221
	;;#ASMEND
	v_ashrrev_i32_e32 v209, 28, v209
	;;#ASMSTART
	v_cvt_off_f32_i4 v209, v209
	;;#ASMEND
	s_delay_alu instid0(VALU_DEP_1) | instskip(SKIP_4) | instid1(VALU_DEP_1)
	v_cvt_pk_fp8_f32 v220, v221, v209 op_sel:[0,0,1]
	v_ashrrev_i32_e32 v221, 16, v210
	;;#ASMSTART
	v_cvt_off_f32_i4 v209, v210
	;;#ASMEND
	;;#ASMSTART
	v_cvt_off_f32_i4 v222, v221
	;;#ASMEND
	v_mov_b32_e32 v221, 0
	v_cvt_pk_fp8_f32 v221, v209, v222
	v_ashrrev_i32_e32 v209, 8, v210
	v_ashrrev_i32_e32 v222, 24, v210
	;;#ASMSTART
	v_cvt_off_f32_i4 v209, v209
	;;#ASMEND
	;;#ASMSTART
	v_cvt_off_f32_i4 v223, v222
	;;#ASMEND
	v_mov_b32_e32 v222, 0
	s_delay_alu instid0(VALU_DEP_1) | instskip(SKIP_4) | instid1(VALU_DEP_1)
	v_cvt_pk_fp8_f32 v222, v209, v223
	v_ashrrev_i32_e32 v209, 4, v210
	;;#ASMSTART
	v_cvt_off_f32_i4 v209, v209
	;;#ASMEND
	v_ashrrev_i32_e32 v223, 20, v210
	;;#ASMSTART
	v_cvt_off_f32_i4 v223, v223
	;;#ASMEND
	v_cvt_pk_fp8_f32 v221, v209, v223 op_sel:[0,0,1]
	v_ashrrev_i32_e32 v209, 12, v210
	v_ashrrev_i32_e32 v210, 28, v210
	;;#ASMSTART
	v_cvt_off_f32_i4 v209, v209
	;;#ASMEND
	;;#ASMSTART
	v_cvt_off_f32_i4 v210, v210
	;;#ASMEND
	s_delay_alu instid0(VALU_DEP_1)
	v_cvt_pk_fp8_f32 v222, v209, v210 op_sel:[0,0,1]
	ds_load_b64 v[209:210], v172 offset:16384
	s_wait_dscnt 0x0
	;;#ASMSTART
	v_cvt_off_f32_i4 v224, v209
	;;#ASMEND
	v_ashrrev_i32_e32 v223, 16, v209
	;;#ASMSTART
	v_cvt_off_f32_i4 v225, v223
	;;#ASMEND
	v_mov_b32_e32 v223, 0
	s_delay_alu instid0(VALU_DEP_1)
	v_cvt_pk_fp8_f32 v223, v224, v225
	v_ashrrev_i32_e32 v224, 8, v209
	;;#ASMSTART
	v_cvt_off_f32_i4 v225, v224
	;;#ASMEND
	v_ashrrev_i32_e32 v224, 24, v209
	;;#ASMSTART
	v_cvt_off_f32_i4 v226, v224
	;;#ASMEND
	v_mov_b32_e32 v224, 0
	s_delay_alu instid0(VALU_DEP_1) | instskip(SKIP_4) | instid1(VALU_DEP_1)
	v_cvt_pk_fp8_f32 v224, v225, v226
	v_ashrrev_i32_e32 v225, 4, v209
	;;#ASMSTART
	v_cvt_off_f32_i4 v225, v225
	;;#ASMEND
	v_ashrrev_i32_e32 v226, 20, v209
	;;#ASMSTART
	v_cvt_off_f32_i4 v226, v226
	;;#ASMEND
	v_cvt_pk_fp8_f32 v223, v225, v226 op_sel:[0,0,1]
	v_ashrrev_i32_e32 v225, 12, v209
	;;#ASMSTART
	v_cvt_off_f32_i4 v225, v225
	;;#ASMEND
	v_ashrrev_i32_e32 v209, 28, v209
	;;#ASMSTART
	v_cvt_off_f32_i4 v209, v209
	;;#ASMEND
	s_delay_alu instid0(VALU_DEP_1) | instskip(SKIP_4) | instid1(VALU_DEP_1)
	v_cvt_pk_fp8_f32 v224, v225, v209 op_sel:[0,0,1]
	v_ashrrev_i32_e32 v225, 16, v210
	;;#ASMSTART
	v_cvt_off_f32_i4 v209, v210
	;;#ASMEND
	;;#ASMSTART
	v_cvt_off_f32_i4 v226, v225
	;;#ASMEND
	v_mov_b32_e32 v225, 0
	v_cvt_pk_fp8_f32 v225, v209, v226
	v_ashrrev_i32_e32 v209, 8, v210
	v_ashrrev_i32_e32 v226, 24, v210
	;;#ASMSTART
	v_cvt_off_f32_i4 v209, v209
	;;#ASMEND
	;;#ASMSTART
	v_cvt_off_f32_i4 v227, v226
	;;#ASMEND
	v_mov_b32_e32 v226, 0
	s_delay_alu instid0(VALU_DEP_1) | instskip(SKIP_4) | instid1(VALU_DEP_1)
	v_cvt_pk_fp8_f32 v226, v209, v227
	v_ashrrev_i32_e32 v209, 4, v210
	;;#ASMSTART
	v_cvt_off_f32_i4 v209, v209
	;;#ASMEND
	v_ashrrev_i32_e32 v227, 20, v210
	;;#ASMSTART
	v_cvt_off_f32_i4 v227, v227
	;;#ASMEND
	v_cvt_pk_fp8_f32 v225, v209, v227 op_sel:[0,0,1]
	v_ashrrev_i32_e32 v209, 12, v210
	v_ashrrev_i32_e32 v210, 28, v210
	;;#ASMSTART
	v_cvt_off_f32_i4 v209, v209
	;;#ASMEND
	;;#ASMSTART
	v_cvt_off_f32_i4 v210, v210
	;;#ASMEND
	s_delay_alu instid0(VALU_DEP_1) | instskip(SKIP_3) | instid1(VALU_DEP_1)
	v_cvt_pk_fp8_f32 v226, v209, v210 op_sel:[0,0,1]
	; sched_barrier mask(0x00000000)
	s_barrier_signal -1
	s_barrier_wait -1
	; sched_barrier mask(0x00000000)
	v_wmma_f32_16x16x16_fp8_fp8 v[57:64], v[153:154], v[133:134], v[57:64]
	v_wmma_f32_16x16x16_fp8_fp8 v[57:64], v[155:156], v[135:136], v[57:64]
	; sched_barrier mask(0x00000000)
	s_setprio 1
	; sched_barrier mask(0x00000000)
	v_wmma_f32_16x16x16_fp8_fp8 v[49:56], v[211:212], v[133:134], v[49:56]
	v_wmma_f32_16x16x16_fp8_fp8 v[33:40], v[153:154], v[137:138], v[33:40]
	;; [unrolled: 1-line block ×60, first 2 shown]
	; sched_barrier mask(0x00000000)
	s_wait_dscnt 0x0
	s_barrier_signal -1
	s_barrier_wait -1
	; sched_barrier mask(0x00000000)
	v_wmma_f32_16x16x16_fp8_fp8 v[1:8], v[223:224], v[81:82], v[1:8]
	s_delay_alu instid0(VALU_DEP_1)
	v_wmma_f32_16x16x16_fp8_fp8 v[1:8], v[225:226], v[83:84], v[1:8]
	; sched_barrier mask(0x00000000)
	s_setprio 0
	; sched_barrier mask(0x00000000)
	s_wait_loadcnt 0x7
	ds_store_b128 v203, v[69:72]
	v_add_nc_u32_e32 v69, v203, v191
	s_wait_alu 0xfffe
	v_add_nc_u32_e64 v211, 2, s7
	v_add_nc_u32_e32 v210, v175, v187
	s_wait_loadcnt 0x6
	ds_store_b128 v69, v[65:68] offset:128
	v_add_nc_u32_e32 v65, v69, v194
	s_wait_loadcnt 0x5
	ds_store_b128 v65, v[73:76] offset:128
	v_add_nc_u32_e32 v209, v65, v196
	v_lshrrev_b32_e32 v65, 31, v207
	s_wait_loadcnt 0x4
	ds_store_b128 v209, v[77:80] offset:128
	v_add_nc_u32_e32 v65, v207, v65
	s_delay_alu instid0(VALU_DEP_1) | instskip(SKIP_3) | instid1(VALU_DEP_1)
	v_ashrrev_i32_e32 v65, 1, v65
	s_wait_loadcnt 0x3
	ds_store_b64 v65, v[145:146] offset:16384
	v_add_nc_u32_e32 v65, v207, v199
	v_lshrrev_b32_e32 v66, 31, v65
	s_delay_alu instid0(VALU_DEP_1) | instskip(SKIP_1) | instid1(VALU_DEP_2)
	v_add_nc_u32_e32 v66, v65, v66
	v_add_nc_u32_e32 v65, v65, v200
	v_ashrrev_i32_e32 v66, 1, v66
	s_delay_alu instid0(VALU_DEP_2) | instskip(SKIP_3) | instid1(VALU_DEP_1)
	v_add_nc_u32_e32 v207, v65, v201
	s_wait_loadcnt 0x0
	ds_store_b64 v66, v[151:152] offset:16384
	v_lshrrev_b32_e32 v66, 31, v65
	v_add_nc_u32_e32 v66, v65, v66
	v_lshrrev_b32_e32 v65, 31, v207
	s_delay_alu instid0(VALU_DEP_2) | instskip(NEXT) | instid1(VALU_DEP_2)
	v_ashrrev_i32_e32 v66, 1, v66
	v_add_nc_u32_e32 v65, v207, v65
	ds_store_b64 v66, v[149:150] offset:16384
	v_ashrrev_i32_e32 v65, 1, v65
	v_sub_nc_u32_e32 v66, v186, v179
	ds_store_b64 v65, v[147:148] offset:16384
	v_sub_nc_u32_e32 v65, v211, v206
	v_sub_nc_u32_e32 v67, v66, v174
	;; [unrolled: 1-line block ×3, first 2 shown]
	v_add_nc_u32_e32 v206, v175, v190
	s_delay_alu instid0(VALU_DEP_4) | instskip(NEXT) | instid1(VALU_DEP_4)
	v_mul_lo_u32 v65, v65, s12
	v_lshlrev_b32_e32 v67, 4, v67
	s_delay_alu instid0(VALU_DEP_1) | instskip(SKIP_1) | instid1(VALU_DEP_2)
	v_add3_u32 v65, v65, v208, v67
	v_lshrrev_b32_e32 v67, 31, v208
	v_lshrrev_b32_e32 v68, 31, v65
	s_delay_alu instid0(VALU_DEP_2) | instskip(SKIP_1) | instid1(VALU_DEP_3)
	v_add_nc_u32_e32 v67, v208, v67
	v_add_nc_u32_e32 v208, v175, v189
	;; [unrolled: 1-line block ×4, first 2 shown]
	s_delay_alu instid0(VALU_DEP_4) | instskip(NEXT) | instid1(VALU_DEP_3)
	v_ashrrev_i32_e32 v67, 1, v67
	v_ashrrev_i32_e32 v68, 1, v68
	s_delay_alu instid0(VALU_DEP_3) | instskip(SKIP_1) | instid1(VALU_DEP_1)
	v_lshl_add_u32 v212, v66, 4, v65
	v_lshrrev_b32_e32 v66, 31, v65
	v_add_nc_u32_e32 v65, v65, v66
	s_delay_alu instid0(VALU_DEP_3) | instskip(NEXT) | instid1(VALU_DEP_2)
	v_lshrrev_b32_e32 v66, 31, v212
	v_ashrrev_i32_e32 v65, 1, v65
	s_delay_alu instid0(VALU_DEP_2) | instskip(NEXT) | instid1(VALU_DEP_1)
	v_add_nc_u32_e32 v66, v212, v66
	v_ashrrev_i32_e32 v66, 1, v66
	s_clause 0x3
	buffer_load_b64 v[149:150], v67, s[8:11], null offen
	buffer_load_b64 v[145:146], v68, s[8:11], null offen
	;; [unrolled: 1-line block ×4, first 2 shown]
	s_clause 0x3
	buffer_load_b128 v[77:80], v205, s[0:3], null offen offset:256
	buffer_load_b128 v[73:76], v206, s[0:3], null offen offset:256
	;; [unrolled: 1-line block ×4, first 2 shown]
	s_wait_dscnt 0x0
	s_barrier_signal -1
	s_barrier_wait -1
	ds_load_b64 v[156:157], v188 offset:16384
	ds_load_b128 v[125:128], v195
	ds_load_b128 v[133:136], v183
	ds_load_b128 v[137:140], v183 offset:4096
	ds_load_b128 v[113:116], v195 offset:4096
	ds_load_b128 v[117:120], v195 offset:8192
	ds_load_b128 v[105:108], v192 offset:4096
	ds_load_b128 v[97:100], v192 offset:8192
	ds_load_b128 v[89:92], v193 offset:4096
	ds_load_b128 v[85:88], v193 offset:8192
	ds_load_b128 v[141:144], v183 offset:8192
	ds_load_b128 v[129:132], v183 offset:12288
	ds_load_b128 v[109:112], v192
	ds_load_b128 v[121:124], v195 offset:12288
	ds_load_b128 v[93:96], v193
	ds_load_b128 v[101:104], v192 offset:12288
	ds_load_b128 v[81:84], v193 offset:12288
	s_wait_dscnt 0x10
	;;#ASMSTART
	v_cvt_off_f32_i4 v154, v156
	;;#ASMEND
	v_ashrrev_i32_e32 v153, 16, v156
	;;#ASMSTART
	v_cvt_off_f32_i4 v155, v153
	;;#ASMEND
	v_mov_b32_e32 v153, 0
	v_ashrrev_i32_e32 v158, 24, v156
	v_ashrrev_i32_e32 v159, 24, v157
	s_delay_alu instid0(VALU_DEP_3) | instskip(SKIP_4) | instid1(VALU_DEP_1)
	v_cvt_pk_fp8_f32 v153, v154, v155
	v_ashrrev_i32_e32 v154, 8, v156
	;;#ASMSTART
	v_cvt_off_f32_i4 v155, v154
	;;#ASMEND
	v_mov_b32_e32 v154, 0
	;;#ASMSTART
	v_cvt_off_f32_i4 v158, v158
	;;#ASMEND
	v_cvt_pk_fp8_f32 v154, v155, v158
	v_ashrrev_i32_e32 v155, 4, v156
	;;#ASMSTART
	v_cvt_off_f32_i4 v155, v155
	;;#ASMEND
	v_ashrrev_i32_e32 v158, 20, v156
	;;#ASMSTART
	v_cvt_off_f32_i4 v158, v158
	;;#ASMEND
	s_delay_alu instid0(VALU_DEP_1) | instskip(SKIP_4) | instid1(VALU_DEP_1)
	v_cvt_pk_fp8_f32 v153, v155, v158 op_sel:[0,0,1]
	v_ashrrev_i32_e32 v155, 12, v156
	;;#ASMSTART
	v_cvt_off_f32_i4 v155, v155
	;;#ASMEND
	v_ashrrev_i32_e32 v156, 28, v156
	;;#ASMSTART
	v_cvt_off_f32_i4 v156, v156
	;;#ASMEND
	v_cvt_pk_fp8_f32 v154, v155, v156 op_sel:[0,0,1]
	v_ashrrev_i32_e32 v155, 16, v157
	;;#ASMSTART
	v_cvt_off_f32_i4 v156, v157
	;;#ASMEND
	;;#ASMSTART
	v_cvt_off_f32_i4 v158, v155
	;;#ASMEND
	v_mov_b32_e32 v155, 0
	s_delay_alu instid0(VALU_DEP_1) | instskip(SKIP_4) | instid1(VALU_DEP_1)
	v_cvt_pk_fp8_f32 v155, v156, v158
	v_ashrrev_i32_e32 v156, 8, v157
	;;#ASMSTART
	v_cvt_off_f32_i4 v158, v156
	;;#ASMEND
	v_mov_b32_e32 v156, 0
	;;#ASMSTART
	v_cvt_off_f32_i4 v159, v159
	;;#ASMEND
	v_cvt_pk_fp8_f32 v156, v158, v159
	v_ashrrev_i32_e32 v158, 4, v157
	;;#ASMSTART
	v_cvt_off_f32_i4 v158, v158
	;;#ASMEND
	v_ashrrev_i32_e32 v159, 20, v157
	;;#ASMSTART
	v_cvt_off_f32_i4 v159, v159
	;;#ASMEND
	s_delay_alu instid0(VALU_DEP_1)
	v_cvt_pk_fp8_f32 v155, v158, v159 op_sel:[0,0,1]
	v_ashrrev_i32_e32 v158, 12, v157
	v_ashrrev_i32_e32 v157, 28, v157
	;;#ASMSTART
	v_cvt_off_f32_i4 v158, v158
	;;#ASMEND
	;;#ASMSTART
	v_cvt_off_f32_i4 v157, v157
	;;#ASMEND
	ds_load_b64 v[159:160], v184 offset:16384
	v_cvt_pk_fp8_f32 v156, v158, v157 op_sel:[0,0,1]
	s_wait_dscnt 0x0
	;;#ASMSTART
	v_cvt_off_f32_i4 v158, v159
	;;#ASMEND
	v_ashrrev_i32_e32 v157, 16, v159
	;;#ASMSTART
	v_cvt_off_f32_i4 v161, v157
	;;#ASMEND
	v_mov_b32_e32 v157, 0
	v_ashrrev_i32_e32 v162, 24, v159
	v_ashrrev_i32_e32 v163, 24, v160
	s_delay_alu instid0(VALU_DEP_3) | instskip(SKIP_4) | instid1(VALU_DEP_1)
	v_cvt_pk_fp8_f32 v157, v158, v161
	v_ashrrev_i32_e32 v158, 8, v159
	;;#ASMSTART
	v_cvt_off_f32_i4 v161, v158
	;;#ASMEND
	v_mov_b32_e32 v158, 0
	;;#ASMSTART
	v_cvt_off_f32_i4 v162, v162
	;;#ASMEND
	v_cvt_pk_fp8_f32 v158, v161, v162
	v_ashrrev_i32_e32 v161, 4, v159
	;;#ASMSTART
	v_cvt_off_f32_i4 v161, v161
	;;#ASMEND
	v_ashrrev_i32_e32 v162, 20, v159
	;;#ASMSTART
	v_cvt_off_f32_i4 v162, v162
	;;#ASMEND
	s_delay_alu instid0(VALU_DEP_1) | instskip(SKIP_4) | instid1(VALU_DEP_1)
	v_cvt_pk_fp8_f32 v157, v161, v162 op_sel:[0,0,1]
	v_ashrrev_i32_e32 v161, 12, v159
	;;#ASMSTART
	v_cvt_off_f32_i4 v161, v161
	;;#ASMEND
	v_ashrrev_i32_e32 v159, 28, v159
	;;#ASMSTART
	v_cvt_off_f32_i4 v159, v159
	;;#ASMEND
	v_cvt_pk_fp8_f32 v158, v161, v159 op_sel:[0,0,1]
	v_mov_b32_e32 v161, 0
	v_ashrrev_i32_e32 v159, 16, v160
	;;#ASMSTART
	v_cvt_off_f32_i4 v162, v160
	;;#ASMEND
	;;#ASMSTART
	v_cvt_off_f32_i4 v159, v159
	;;#ASMEND
	s_delay_alu instid0(VALU_DEP_1) | instskip(SKIP_4) | instid1(VALU_DEP_1)
	v_cvt_pk_fp8_f32 v161, v162, v159
	v_mov_b32_e32 v162, 0
	v_ashrrev_i32_e32 v159, 8, v160
	;;#ASMSTART
	v_cvt_off_f32_i4 v159, v159
	;;#ASMEND
	;;#ASMSTART
	v_cvt_off_f32_i4 v163, v163
	;;#ASMEND
	v_cvt_pk_fp8_f32 v162, v159, v163
	v_ashrrev_i32_e32 v159, 4, v160
	;;#ASMSTART
	v_cvt_off_f32_i4 v159, v159
	;;#ASMEND
	v_ashrrev_i32_e32 v163, 20, v160
	;;#ASMSTART
	v_cvt_off_f32_i4 v163, v163
	;;#ASMEND
	s_delay_alu instid0(VALU_DEP_1)
	v_cvt_pk_fp8_f32 v161, v159, v163 op_sel:[0,0,1]
	v_ashrrev_i32_e32 v159, 12, v160
	v_ashrrev_i32_e32 v160, 28, v160
	;;#ASMSTART
	v_cvt_off_f32_i4 v159, v159
	;;#ASMEND
	;;#ASMSTART
	v_cvt_off_f32_i4 v160, v160
	;;#ASMEND
	ds_load_b64 v[164:165], v182 offset:16384
	v_cvt_pk_fp8_f32 v162, v159, v160 op_sel:[0,0,1]
	s_wait_dscnt 0x0
	;;#ASMSTART
	v_cvt_off_f32_i4 v160, v164
	;;#ASMEND
	v_ashrrev_i32_e32 v159, 16, v164
	;;#ASMSTART
	v_cvt_off_f32_i4 v163, v159
	;;#ASMEND
	v_mov_b32_e32 v159, 0
	v_ashrrev_i32_e32 v166, 24, v164
	v_ashrrev_i32_e32 v167, 24, v165
	s_delay_alu instid0(VALU_DEP_3) | instskip(SKIP_4) | instid1(VALU_DEP_1)
	v_cvt_pk_fp8_f32 v159, v160, v163
	v_ashrrev_i32_e32 v160, 8, v164
	;;#ASMSTART
	v_cvt_off_f32_i4 v163, v160
	;;#ASMEND
	v_mov_b32_e32 v160, 0
	;;#ASMSTART
	v_cvt_off_f32_i4 v166, v166
	;;#ASMEND
	v_cvt_pk_fp8_f32 v160, v163, v166
	v_ashrrev_i32_e32 v163, 4, v164
	;;#ASMSTART
	v_cvt_off_f32_i4 v163, v163
	;;#ASMEND
	v_ashrrev_i32_e32 v166, 20, v164
	;;#ASMSTART
	v_cvt_off_f32_i4 v166, v166
	;;#ASMEND
	s_delay_alu instid0(VALU_DEP_1) | instskip(SKIP_4) | instid1(VALU_DEP_1)
	v_cvt_pk_fp8_f32 v159, v163, v166 op_sel:[0,0,1]
	v_ashrrev_i32_e32 v163, 12, v164
	;;#ASMSTART
	v_cvt_off_f32_i4 v163, v163
	;;#ASMEND
	v_ashrrev_i32_e32 v164, 28, v164
	;;#ASMSTART
	v_cvt_off_f32_i4 v164, v164
	;;#ASMEND
	v_cvt_pk_fp8_f32 v160, v163, v164 op_sel:[0,0,1]
	v_ashrrev_i32_e32 v163, 16, v165
	;;#ASMSTART
	v_cvt_off_f32_i4 v164, v165
	;;#ASMEND
	;;#ASMSTART
	v_cvt_off_f32_i4 v166, v163
	;;#ASMEND
	v_mov_b32_e32 v163, 0
	s_delay_alu instid0(VALU_DEP_1) | instskip(SKIP_4) | instid1(VALU_DEP_1)
	v_cvt_pk_fp8_f32 v163, v164, v166
	v_ashrrev_i32_e32 v164, 8, v165
	;;#ASMSTART
	v_cvt_off_f32_i4 v166, v164
	;;#ASMEND
	v_mov_b32_e32 v164, 0
	;;#ASMSTART
	v_cvt_off_f32_i4 v167, v167
	;;#ASMEND
	v_cvt_pk_fp8_f32 v164, v166, v167
	v_ashrrev_i32_e32 v166, 4, v165
	;;#ASMSTART
	v_cvt_off_f32_i4 v166, v166
	;;#ASMEND
	v_ashrrev_i32_e32 v167, 20, v165
	;;#ASMSTART
	v_cvt_off_f32_i4 v167, v167
	;;#ASMEND
	s_delay_alu instid0(VALU_DEP_1)
	v_cvt_pk_fp8_f32 v163, v166, v167 op_sel:[0,0,1]
	v_ashrrev_i32_e32 v166, 12, v165
	v_ashrrev_i32_e32 v165, 28, v165
	;;#ASMSTART
	v_cvt_off_f32_i4 v166, v166
	;;#ASMEND
	;;#ASMSTART
	v_cvt_off_f32_i4 v165, v165
	;;#ASMEND
	ds_load_b64 v[213:214], v181 offset:16384
	v_cvt_pk_fp8_f32 v164, v166, v165 op_sel:[0,0,1]
	s_wait_dscnt 0x0
	;;#ASMSTART
	v_cvt_off_f32_i4 v166, v213
	;;#ASMEND
	v_ashrrev_i32_e32 v165, 16, v213
	;;#ASMSTART
	v_cvt_off_f32_i4 v167, v165
	;;#ASMEND
	v_mov_b32_e32 v165, 0
	v_ashrrev_i32_e32 v168, 24, v213
	v_ashrrev_i32_e32 v215, 24, v214
	s_delay_alu instid0(VALU_DEP_3)
	v_cvt_pk_fp8_f32 v165, v166, v167
	v_ashrrev_i32_e32 v166, 8, v213
	;;#ASMSTART
	v_cvt_off_f32_i4 v167, v166
	;;#ASMEND
	v_mov_b32_e32 v166, 0
	;;#ASMSTART
	v_cvt_off_f32_i4 v168, v168
	;;#ASMEND
	v_add_nc_u32_e32 v207, v207, v202
	s_delay_alu instid0(VALU_DEP_2) | instskip(SKIP_4) | instid1(VALU_DEP_1)
	v_cvt_pk_fp8_f32 v166, v167, v168
	v_ashrrev_i32_e32 v167, 4, v213
	;;#ASMSTART
	v_cvt_off_f32_i4 v167, v167
	;;#ASMEND
	v_ashrrev_i32_e32 v168, 20, v213
	;;#ASMSTART
	v_cvt_off_f32_i4 v168, v168
	;;#ASMEND
	v_cvt_pk_fp8_f32 v165, v167, v168 op_sel:[0,0,1]
	v_ashrrev_i32_e32 v167, 12, v213
	;;#ASMSTART
	v_cvt_off_f32_i4 v167, v167
	;;#ASMEND
	v_ashrrev_i32_e32 v168, 28, v213
	;;#ASMSTART
	v_cvt_off_f32_i4 v168, v168
	;;#ASMEND
	s_delay_alu instid0(VALU_DEP_1) | instskip(SKIP_4) | instid1(VALU_DEP_1)
	v_cvt_pk_fp8_f32 v166, v167, v168 op_sel:[0,0,1]
	v_ashrrev_i32_e32 v167, 16, v214
	;;#ASMSTART
	v_cvt_off_f32_i4 v168, v214
	;;#ASMEND
	;;#ASMSTART
	v_cvt_off_f32_i4 v213, v167
	;;#ASMEND
	v_mov_b32_e32 v167, 0
	v_cvt_pk_fp8_f32 v167, v168, v213
	v_ashrrev_i32_e32 v168, 8, v214
	;;#ASMSTART
	v_cvt_off_f32_i4 v213, v168
	;;#ASMEND
	v_mov_b32_e32 v168, 0
	;;#ASMSTART
	v_cvt_off_f32_i4 v215, v215
	;;#ASMEND
	s_delay_alu instid0(VALU_DEP_1) | instskip(SKIP_4) | instid1(VALU_DEP_1)
	v_cvt_pk_fp8_f32 v168, v213, v215
	v_ashrrev_i32_e32 v213, 4, v214
	;;#ASMSTART
	v_cvt_off_f32_i4 v213, v213
	;;#ASMEND
	v_ashrrev_i32_e32 v215, 20, v214
	;;#ASMSTART
	v_cvt_off_f32_i4 v215, v215
	;;#ASMEND
	v_cvt_pk_fp8_f32 v167, v213, v215 op_sel:[0,0,1]
	v_ashrrev_i32_e32 v213, 12, v214
	v_ashrrev_i32_e32 v214, 28, v214
	;;#ASMSTART
	v_cvt_off_f32_i4 v213, v213
	;;#ASMEND
	;;#ASMSTART
	v_cvt_off_f32_i4 v214, v214
	;;#ASMEND
	s_delay_alu instid0(VALU_DEP_1)
	v_cvt_pk_fp8_f32 v168, v213, v214 op_sel:[0,0,1]
	ds_load_b64 v[213:214], v178 offset:16384
	s_wait_dscnt 0x0
	;;#ASMSTART
	v_cvt_off_f32_i4 v216, v213
	;;#ASMEND
	v_ashrrev_i32_e32 v215, 16, v213
	;;#ASMSTART
	v_cvt_off_f32_i4 v217, v215
	;;#ASMEND
	v_mov_b32_e32 v215, 0
	v_ashrrev_i32_e32 v218, 24, v213
	v_ashrrev_i32_e32 v219, 24, v214
	s_delay_alu instid0(VALU_DEP_3) | instskip(SKIP_4) | instid1(VALU_DEP_1)
	v_cvt_pk_fp8_f32 v215, v216, v217
	v_ashrrev_i32_e32 v216, 8, v213
	;;#ASMSTART
	v_cvt_off_f32_i4 v217, v216
	;;#ASMEND
	v_mov_b32_e32 v216, 0
	;;#ASMSTART
	v_cvt_off_f32_i4 v218, v218
	;;#ASMEND
	v_cvt_pk_fp8_f32 v216, v217, v218
	v_ashrrev_i32_e32 v217, 4, v213
	;;#ASMSTART
	v_cvt_off_f32_i4 v217, v217
	;;#ASMEND
	v_ashrrev_i32_e32 v218, 20, v213
	;;#ASMSTART
	v_cvt_off_f32_i4 v218, v218
	;;#ASMEND
	s_delay_alu instid0(VALU_DEP_1) | instskip(SKIP_4) | instid1(VALU_DEP_1)
	v_cvt_pk_fp8_f32 v215, v217, v218 op_sel:[0,0,1]
	v_ashrrev_i32_e32 v217, 12, v213
	;;#ASMSTART
	v_cvt_off_f32_i4 v217, v217
	;;#ASMEND
	v_ashrrev_i32_e32 v213, 28, v213
	;;#ASMSTART
	v_cvt_off_f32_i4 v213, v213
	;;#ASMEND
	v_cvt_pk_fp8_f32 v216, v217, v213 op_sel:[0,0,1]
	v_mov_b32_e32 v217, 0
	v_ashrrev_i32_e32 v213, 16, v214
	;;#ASMSTART
	v_cvt_off_f32_i4 v218, v214
	;;#ASMEND
	;;#ASMSTART
	v_cvt_off_f32_i4 v213, v213
	;;#ASMEND
	s_delay_alu instid0(VALU_DEP_1) | instskip(SKIP_4) | instid1(VALU_DEP_1)
	v_cvt_pk_fp8_f32 v217, v218, v213
	v_mov_b32_e32 v218, 0
	v_ashrrev_i32_e32 v213, 8, v214
	;;#ASMSTART
	v_cvt_off_f32_i4 v213, v213
	;;#ASMEND
	;;#ASMSTART
	v_cvt_off_f32_i4 v219, v219
	;;#ASMEND
	v_cvt_pk_fp8_f32 v218, v213, v219
	v_ashrrev_i32_e32 v213, 4, v214
	;;#ASMSTART
	v_cvt_off_f32_i4 v213, v213
	;;#ASMEND
	v_ashrrev_i32_e32 v219, 20, v214
	;;#ASMSTART
	v_cvt_off_f32_i4 v219, v219
	;;#ASMEND
	s_delay_alu instid0(VALU_DEP_1) | instskip(SKIP_4) | instid1(VALU_DEP_1)
	v_cvt_pk_fp8_f32 v217, v213, v219 op_sel:[0,0,1]
	v_ashrrev_i32_e32 v213, 12, v214
	v_ashrrev_i32_e32 v214, 28, v214
	;;#ASMSTART
	v_cvt_off_f32_i4 v213, v213
	;;#ASMEND
	;;#ASMSTART
	v_cvt_off_f32_i4 v214, v214
	;;#ASMEND
	v_cvt_pk_fp8_f32 v218, v213, v214 op_sel:[0,0,1]
	ds_load_b64 v[213:214], v177 offset:16384
	s_wait_dscnt 0x0
	;;#ASMSTART
	v_cvt_off_f32_i4 v220, v213
	;;#ASMEND
	v_ashrrev_i32_e32 v219, 16, v213
	;;#ASMSTART
	v_cvt_off_f32_i4 v221, v219
	;;#ASMEND
	v_mov_b32_e32 v219, 0
	v_ashrrev_i32_e32 v222, 24, v213
	v_ashrrev_i32_e32 v223, 24, v214
	s_delay_alu instid0(VALU_DEP_3) | instskip(SKIP_4) | instid1(VALU_DEP_1)
	v_cvt_pk_fp8_f32 v219, v220, v221
	v_ashrrev_i32_e32 v220, 8, v213
	;;#ASMSTART
	v_cvt_off_f32_i4 v221, v220
	;;#ASMEND
	v_mov_b32_e32 v220, 0
	;;#ASMSTART
	v_cvt_off_f32_i4 v222, v222
	;;#ASMEND
	v_cvt_pk_fp8_f32 v220, v221, v222
	v_ashrrev_i32_e32 v221, 4, v213
	;;#ASMSTART
	v_cvt_off_f32_i4 v221, v221
	;;#ASMEND
	v_ashrrev_i32_e32 v222, 20, v213
	;;#ASMSTART
	v_cvt_off_f32_i4 v222, v222
	;;#ASMEND
	s_delay_alu instid0(VALU_DEP_1) | instskip(SKIP_4) | instid1(VALU_DEP_1)
	v_cvt_pk_fp8_f32 v219, v221, v222 op_sel:[0,0,1]
	v_ashrrev_i32_e32 v221, 12, v213
	;;#ASMSTART
	v_cvt_off_f32_i4 v221, v221
	;;#ASMEND
	v_ashrrev_i32_e32 v213, 28, v213
	;;#ASMSTART
	v_cvt_off_f32_i4 v213, v213
	;;#ASMEND
	v_cvt_pk_fp8_f32 v220, v221, v213 op_sel:[0,0,1]
	v_mov_b32_e32 v221, 0
	v_ashrrev_i32_e32 v213, 16, v214
	;;#ASMSTART
	v_cvt_off_f32_i4 v222, v214
	;;#ASMEND
	;;#ASMSTART
	v_cvt_off_f32_i4 v213, v213
	;;#ASMEND
	s_delay_alu instid0(VALU_DEP_1) | instskip(SKIP_4) | instid1(VALU_DEP_1)
	v_cvt_pk_fp8_f32 v221, v222, v213
	v_mov_b32_e32 v222, 0
	v_ashrrev_i32_e32 v213, 8, v214
	;;#ASMSTART
	v_cvt_off_f32_i4 v213, v213
	;;#ASMEND
	;;#ASMSTART
	v_cvt_off_f32_i4 v223, v223
	;;#ASMEND
	v_cvt_pk_fp8_f32 v222, v213, v223
	v_ashrrev_i32_e32 v213, 4, v214
	;;#ASMSTART
	v_cvt_off_f32_i4 v213, v213
	;;#ASMEND
	v_ashrrev_i32_e32 v223, 20, v214
	;;#ASMSTART
	v_cvt_off_f32_i4 v223, v223
	;;#ASMEND
	s_delay_alu instid0(VALU_DEP_1) | instskip(SKIP_4) | instid1(VALU_DEP_1)
	v_cvt_pk_fp8_f32 v221, v213, v223 op_sel:[0,0,1]
	v_ashrrev_i32_e32 v213, 12, v214
	v_ashrrev_i32_e32 v214, 28, v214
	;;#ASMSTART
	v_cvt_off_f32_i4 v213, v213
	;;#ASMEND
	;;#ASMSTART
	v_cvt_off_f32_i4 v214, v214
	;;#ASMEND
	v_cvt_pk_fp8_f32 v222, v213, v214 op_sel:[0,0,1]
	ds_load_b64 v[213:214], v176 offset:16384
	s_wait_dscnt 0x0
	;;#ASMSTART
	v_cvt_off_f32_i4 v224, v213
	;;#ASMEND
	v_ashrrev_i32_e32 v223, 16, v213
	;;#ASMSTART
	v_cvt_off_f32_i4 v225, v223
	;;#ASMEND
	v_mov_b32_e32 v223, 0
	v_ashrrev_i32_e32 v226, 24, v213
	v_ashrrev_i32_e32 v227, 24, v214
	s_delay_alu instid0(VALU_DEP_3) | instskip(SKIP_4) | instid1(VALU_DEP_1)
	v_cvt_pk_fp8_f32 v223, v224, v225
	v_ashrrev_i32_e32 v224, 8, v213
	;;#ASMSTART
	v_cvt_off_f32_i4 v225, v224
	;;#ASMEND
	v_mov_b32_e32 v224, 0
	;;#ASMSTART
	v_cvt_off_f32_i4 v226, v226
	;;#ASMEND
	v_cvt_pk_fp8_f32 v224, v225, v226
	v_ashrrev_i32_e32 v225, 4, v213
	;;#ASMSTART
	v_cvt_off_f32_i4 v225, v225
	;;#ASMEND
	v_ashrrev_i32_e32 v226, 20, v213
	;;#ASMSTART
	v_cvt_off_f32_i4 v226, v226
	;;#ASMEND
	s_delay_alu instid0(VALU_DEP_1) | instskip(SKIP_4) | instid1(VALU_DEP_1)
	v_cvt_pk_fp8_f32 v223, v225, v226 op_sel:[0,0,1]
	v_ashrrev_i32_e32 v225, 12, v213
	;;#ASMSTART
	v_cvt_off_f32_i4 v225, v225
	;;#ASMEND
	v_ashrrev_i32_e32 v213, 28, v213
	;;#ASMSTART
	v_cvt_off_f32_i4 v213, v213
	;;#ASMEND
	v_cvt_pk_fp8_f32 v224, v225, v213 op_sel:[0,0,1]
	v_mov_b32_e32 v225, 0
	v_ashrrev_i32_e32 v213, 16, v214
	;;#ASMSTART
	v_cvt_off_f32_i4 v226, v214
	;;#ASMEND
	;;#ASMSTART
	v_cvt_off_f32_i4 v213, v213
	;;#ASMEND
	s_delay_alu instid0(VALU_DEP_1) | instskip(SKIP_4) | instid1(VALU_DEP_1)
	v_cvt_pk_fp8_f32 v225, v226, v213
	v_mov_b32_e32 v226, 0
	v_ashrrev_i32_e32 v213, 8, v214
	;;#ASMSTART
	v_cvt_off_f32_i4 v213, v213
	;;#ASMEND
	;;#ASMSTART
	v_cvt_off_f32_i4 v227, v227
	;;#ASMEND
	v_cvt_pk_fp8_f32 v226, v213, v227
	v_ashrrev_i32_e32 v213, 4, v214
	;;#ASMSTART
	v_cvt_off_f32_i4 v213, v213
	;;#ASMEND
	v_ashrrev_i32_e32 v227, 20, v214
	;;#ASMSTART
	v_cvt_off_f32_i4 v227, v227
	;;#ASMEND
	s_delay_alu instid0(VALU_DEP_1) | instskip(SKIP_4) | instid1(VALU_DEP_1)
	v_cvt_pk_fp8_f32 v225, v213, v227 op_sel:[0,0,1]
	v_ashrrev_i32_e32 v213, 12, v214
	v_ashrrev_i32_e32 v214, 28, v214
	;;#ASMSTART
	v_cvt_off_f32_i4 v213, v213
	;;#ASMEND
	;;#ASMSTART
	v_cvt_off_f32_i4 v214, v214
	;;#ASMEND
	v_cvt_pk_fp8_f32 v226, v213, v214 op_sel:[0,0,1]
	ds_load_b64 v[213:214], v172 offset:16384
	s_wait_dscnt 0x0
	;;#ASMSTART
	v_cvt_off_f32_i4 v228, v213
	;;#ASMEND
	v_ashrrev_i32_e32 v227, 16, v213
	;;#ASMSTART
	v_cvt_off_f32_i4 v229, v227
	;;#ASMEND
	v_mov_b32_e32 v227, 0
	v_ashrrev_i32_e32 v230, 24, v213
	v_ashrrev_i32_e32 v231, 24, v214
	s_delay_alu instid0(VALU_DEP_3) | instskip(SKIP_4) | instid1(VALU_DEP_1)
	v_cvt_pk_fp8_f32 v227, v228, v229
	v_ashrrev_i32_e32 v228, 8, v213
	;;#ASMSTART
	v_cvt_off_f32_i4 v229, v228
	;;#ASMEND
	v_mov_b32_e32 v228, 0
	;;#ASMSTART
	v_cvt_off_f32_i4 v230, v230
	;;#ASMEND
	v_cvt_pk_fp8_f32 v228, v229, v230
	v_ashrrev_i32_e32 v229, 4, v213
	;;#ASMSTART
	v_cvt_off_f32_i4 v229, v229
	;;#ASMEND
	v_ashrrev_i32_e32 v230, 20, v213
	;;#ASMSTART
	v_cvt_off_f32_i4 v230, v230
	;;#ASMEND
	s_delay_alu instid0(VALU_DEP_1) | instskip(SKIP_4) | instid1(VALU_DEP_1)
	v_cvt_pk_fp8_f32 v227, v229, v230 op_sel:[0,0,1]
	v_ashrrev_i32_e32 v229, 12, v213
	;;#ASMSTART
	v_cvt_off_f32_i4 v229, v229
	;;#ASMEND
	v_ashrrev_i32_e32 v213, 28, v213
	;;#ASMSTART
	v_cvt_off_f32_i4 v213, v213
	;;#ASMEND
	v_cvt_pk_fp8_f32 v228, v229, v213 op_sel:[0,0,1]
	v_mov_b32_e32 v229, 0
	v_ashrrev_i32_e32 v213, 16, v214
	;;#ASMSTART
	v_cvt_off_f32_i4 v230, v214
	;;#ASMEND
	;;#ASMSTART
	v_cvt_off_f32_i4 v213, v213
	;;#ASMEND
	s_delay_alu instid0(VALU_DEP_1) | instskip(SKIP_4) | instid1(VALU_DEP_1)
	v_cvt_pk_fp8_f32 v229, v230, v213
	v_mov_b32_e32 v230, 0
	v_ashrrev_i32_e32 v213, 8, v214
	;;#ASMSTART
	v_cvt_off_f32_i4 v213, v213
	;;#ASMEND
	;;#ASMSTART
	v_cvt_off_f32_i4 v231, v231
	;;#ASMEND
	v_cvt_pk_fp8_f32 v230, v213, v231
	v_ashrrev_i32_e32 v213, 4, v214
	;;#ASMSTART
	v_cvt_off_f32_i4 v213, v213
	;;#ASMEND
	v_ashrrev_i32_e32 v231, 20, v214
	;;#ASMSTART
	v_cvt_off_f32_i4 v231, v231
	;;#ASMEND
	s_delay_alu instid0(VALU_DEP_1) | instskip(SKIP_4) | instid1(VALU_DEP_1)
	v_cvt_pk_fp8_f32 v229, v213, v231 op_sel:[0,0,1]
	v_ashrrev_i32_e32 v213, 12, v214
	v_ashrrev_i32_e32 v214, 28, v214
	;;#ASMSTART
	v_cvt_off_f32_i4 v213, v213
	;;#ASMEND
	;;#ASMSTART
	v_cvt_off_f32_i4 v214, v214
	;;#ASMEND
	v_cvt_pk_fp8_f32 v230, v213, v214 op_sel:[0,0,1]
	v_add_nc_u32_e64 v213, 3, s7
	s_delay_alu instid0(VALU_DEP_1) | instskip(NEXT) | instid1(VALU_DEP_1)
	v_sub_nc_u32_e32 v211, v213, v211
	v_mul_lo_u32 v211, v211, s12
	s_delay_alu instid0(VALU_DEP_1) | instskip(SKIP_3) | instid1(VALU_DEP_1)
	v_add3_u32 v211, v211, v212, 0xffffff80
	; sched_barrier mask(0x00000000)
	s_barrier_signal -1
	s_barrier_wait -1
	; sched_barrier mask(0x00000000)
	v_wmma_f32_16x16x16_fp8_fp8 v[57:64], v[153:154], v[133:134], v[57:64]
	v_wmma_f32_16x16x16_fp8_fp8 v[57:64], v[155:156], v[135:136], v[57:64]
	; sched_barrier mask(0x00000000)
	s_setprio 1
	; sched_barrier mask(0x00000000)
	v_wmma_f32_16x16x16_fp8_fp8 v[49:56], v[215:216], v[133:134], v[49:56]
	v_wmma_f32_16x16x16_fp8_fp8 v[33:40], v[153:154], v[137:138], v[33:40]
	;; [unrolled: 1-line block ×60, first 2 shown]
	; sched_barrier mask(0x00000000)
	s_wait_dscnt 0x0
	s_barrier_signal -1
	s_barrier_wait -1
	; sched_barrier mask(0x00000000)
	v_wmma_f32_16x16x16_fp8_fp8 v[1:8], v[227:228], v[81:82], v[1:8]
	s_delay_alu instid0(VALU_DEP_1)
	v_wmma_f32_16x16x16_fp8_fp8 v[1:8], v[229:230], v[83:84], v[1:8]
	; sched_barrier mask(0x00000000)
	s_setprio 0
	; sched_barrier mask(0x00000000)
	v_add_nc_u32_e32 v81, v209, v197
	v_sub_nc_u32_e32 v83, v213, v213
	v_add_nc_u32_e32 v185, 16, v185
	v_add_nc_u32_e32 v203, v203, v204
	;; [unrolled: 1-line block ×3, first 2 shown]
	s_wait_loadcnt 0x3
	ds_store_b128 v81, v[77:80] offset:128
	v_add_nc_u32_e32 v77, v81, v191
	v_add_nc_u32_e32 v186, 16, v186
	;; [unrolled: 1-line block ×5, first 2 shown]
	s_wait_loadcnt 0x2
	ds_store_b128 v77, v[73:76] offset:256
	v_add3_u32 v73, v81, v198, v194
	v_lshrrev_b32_e32 v81, 31, v211
	v_add_nc_u32_e32 v173, 0x100, v173
	s_wait_loadcnt 0x1
	ds_store_b128 v73, v[69:72] offset:128
	v_add_nc_u32_e32 v69, v73, v196
	v_add_nc_u32_e32 v81, v211, v81
	s_wait_loadcnt 0x0
	ds_store_b128 v69, v[65:68] offset:128
	v_lshrrev_b32_e32 v65, 31, v207
	v_and_b32_e32 v68, 0xff00, v148
	v_and_b32_e32 v69, 0xff000000, v147
	v_ashrrev_i32_e32 v81, 1, v81
	s_delay_alu instid0(VALU_DEP_4) | instskip(NEXT) | instid1(VALU_DEP_1)
	v_add_nc_u32_e32 v65, v207, v65
	v_ashrrev_i32_e32 v65, 1, v65
	ds_store_b64 v65, v[149:150] offset:16384
	v_add_nc_u32_e32 v65, v207, v199
	s_delay_alu instid0(VALU_DEP_1) | instskip(SKIP_1) | instid1(VALU_DEP_2)
	v_lshrrev_b32_e32 v66, 31, v65
	v_add_nc_u32_e32 v67, v65, v200
	v_add_nc_u32_e32 v66, v65, v66
	v_and_b32_e32 v65, 0xffff0000, v148
	s_delay_alu instid0(VALU_DEP_2) | instskip(SKIP_2) | instid1(VALU_DEP_1)
	v_ashrrev_i32_e32 v66, 1, v66
	ds_store_b64 v66, v[151:152] offset:16384
	v_and_b32_e32 v66, 0xff, v148
	v_or3_b32 v65, v68, v65, v66
	v_and_b32_e32 v68, 0xff0000, v147
	s_delay_alu instid0(VALU_DEP_2) | instskip(NEXT) | instid1(VALU_DEP_2)
	v_or3_b32 v66, v65, 0, 0
	v_or3_b32 v65, v180, v69, v68
	v_and_b32_e32 v68, 0xff, v147
	s_delay_alu instid0(VALU_DEP_2) | instskip(NEXT) | instid1(VALU_DEP_1)
	v_and_or_b32 v65, 0xff00, v147, v65
	v_or_b32_e32 v65, v65, v68
	v_lshrrev_b32_e32 v68, 31, v67
	s_delay_alu instid0(VALU_DEP_1) | instskip(NEXT) | instid1(VALU_DEP_1)
	v_add_nc_u32_e32 v68, v67, v68
	v_ashrrev_i32_e32 v68, 1, v68
	ds_store_b64 v68, v[65:66] offset:16384
	v_add_nc_u32_e32 v65, v67, v201
	s_delay_alu instid0(VALU_DEP_1) | instskip(SKIP_1) | instid1(VALU_DEP_2)
	v_lshrrev_b32_e32 v66, 31, v65
	v_add_nc_u32_e32 v207, v65, v202
	v_add_nc_u32_e32 v66, v65, v66
	s_delay_alu instid0(VALU_DEP_1)
	v_ashrrev_i32_e32 v66, 1, v66
	ds_store_b64 v66, v[145:146] offset:16384
	s_clause 0x3
	buffer_load_b128 v[69:72], v205, s[0:3], null offen offset:384
	buffer_load_b128 v[65:68], v206, s[0:3], null offen offset:384
	buffer_load_b128 v[73:76], v208, s[0:3], null offen offset:384
	buffer_load_b128 v[77:80], v210, s[0:3], null offen offset:384
	buffer_load_b64 v[145:146], v81, s[8:11], null offen
	v_mad_co_u64_u32 v[81:82], null, v83, s12, v[211:212]
	v_lshrrev_b32_e32 v206, 3, v185
	s_delay_alu instid0(VALU_DEP_2) | instskip(SKIP_1) | instid1(VALU_DEP_2)
	v_add_nc_u32_e32 v82, 16, v81
	v_add_nc_u32_e32 v81, 0x90, v81
	v_lshrrev_b32_e32 v84, 31, v82
	s_delay_alu instid0(VALU_DEP_1) | instskip(NEXT) | instid1(VALU_DEP_1)
	v_add_nc_u32_e32 v82, v82, v84
	v_ashrrev_i32_e32 v82, 1, v82
	buffer_load_b64 v[147:148], v82, s[8:11], null offen
	v_lshrrev_b32_e32 v82, 31, v81
	s_delay_alu instid0(VALU_DEP_1) | instskip(NEXT) | instid1(VALU_DEP_1)
	v_add_nc_u32_e32 v82, v81, v82
	v_ashrrev_i32_e32 v82, 1, v82
	buffer_load_b64 v[149:150], v82, s[8:11], null offen
	v_mul_lo_u32 v82, v83, s12
	s_delay_alu instid0(VALU_DEP_1) | instskip(NEXT) | instid1(VALU_DEP_1)
	v_add3_u32 v81, v82, v81, -16
	v_lshrrev_b32_e32 v82, 31, v81
	s_delay_alu instid0(VALU_DEP_1) | instskip(NEXT) | instid1(VALU_DEP_1)
	v_add_nc_u32_e32 v82, v81, v82
	v_ashrrev_i32_e32 v82, 1, v82
	buffer_load_b64 v[151:152], v82, s[8:11], null offen
	v_add_nc_u32_e64 v82, 4, s7
	s_add_co_i32 s7, s7, 2
	s_wait_alu 0xfffe
	s_cmp_lt_i32 s7, s13
	s_delay_alu instid0(VALU_DEP_1) | instskip(NEXT) | instid1(VALU_DEP_1)
	v_sub_nc_u32_e32 v82, v82, v213
	v_mul_lo_u32 v82, v82, s12
	s_delay_alu instid0(VALU_DEP_1)
	v_add3_u32 v208, v82, v81, 0xffffff80
	s_cbranch_scc1 .LBB5_12
; %bb.13:
	s_wait_dscnt 0x0
	s_barrier_signal -1
	s_barrier_wait -1
	ds_load_b64 v[129:130], v188 offset:16384
	ds_load_b128 v[109:112], v195
	ds_load_b128 v[121:124], v183
	ds_load_b128 v[117:120], v183 offset:4096
	ds_load_b128 v[101:104], v195 offset:4096
	ds_load_b128 v[97:100], v195 offset:8192
	ds_load_b128 v[89:92], v192 offset:4096
	ds_load_b128 v[81:84], v192 offset:8192
	s_wait_loadcnt 0x5
	ds_load_b128 v[73:76], v193 offset:4096
	ds_load_b128 v[69:72], v193 offset:8192
	;; [unrolled: 1-line block ×4, first 2 shown]
	ds_load_b128 v[93:96], v192
	ds_load_b128 v[105:108], v195 offset:12288
	s_wait_loadcnt 0x4
	ds_load_b128 v[77:80], v193
	ds_load_b128 v[85:88], v192 offset:12288
	ds_load_b128 v[65:68], v193 offset:12288
	s_wait_dscnt 0x10
	;;#ASMSTART
	v_cvt_off_f32_i4 v135, v129
	;;#ASMEND
	v_ashrrev_i32_e32 v131, 16, v129
	v_ashrrev_i32_e32 v132, 8, v129
	;; [unrolled: 1-line block ×3, first 2 shown]
	;;#ASMSTART
	v_cvt_off_f32_i4 v136, v131
	;;#ASMEND
	v_ashrrev_i32_e32 v131, 20, v129
	v_ashrrev_i32_e32 v134, 4, v129
	;;#ASMSTART
	v_cvt_off_f32_i4 v137, v132
	;;#ASMEND
	;;#ASMSTART
	v_cvt_off_f32_i4 v138, v133
	;;#ASMEND
	;; [unrolled: 3-line block ×3, first 2 shown]
	v_ashrrev_i32_e32 v132, 12, v129
	v_ashrrev_i32_e32 v129, 28, v129
	;;#ASMSTART
	v_cvt_off_f32_i4 v140, v131
	;;#ASMEND
	v_ashrrev_i32_e32 v131, 16, v130
	v_ashrrev_i32_e32 v133, 8, v130
	;;#ASMSTART
	v_cvt_off_f32_i4 v141, v132
	;;#ASMEND
	;;#ASMSTART
	v_cvt_off_f32_i4 v142, v129
	;;#ASMEND
	;; [unrolled: 3-line block ×4, first 2 shown]
	s_wait_loadcnt 0x3
	;;#ASMSTART
	v_cvt_off_f32_i4 v145, v133
	;;#ASMEND
	v_ashrrev_i32_e32 v129, 24, v130
	v_ashrrev_i32_e32 v131, 4, v130
	v_ashrrev_i32_e32 v132, 20, v130
	v_ashrrev_i32_e32 v133, 12, v130
	v_ashrrev_i32_e32 v130, 28, v130
	;;#ASMSTART
	v_cvt_off_f32_i4 v146, v129
	;;#ASMEND
	s_wait_loadcnt 0x2
	;;#ASMSTART
	v_cvt_off_f32_i4 v147, v131
	;;#ASMEND
	;;#ASMSTART
	v_cvt_off_f32_i4 v148, v132
	;;#ASMEND
	s_wait_loadcnt 0x1
	;;#ASMSTART
	v_cvt_off_f32_i4 v149, v133
	;;#ASMEND
	;;#ASMSTART
	v_cvt_off_f32_i4 v150, v130
	;;#ASMEND
	ds_load_b64 v[129:130], v184 offset:16384
	s_wait_loadcnt_dscnt 0x0
	;;#ASMSTART
	v_cvt_off_f32_i4 v151, v129
	;;#ASMEND
	s_lshl_b64 s[0:1], s[24:25], 1
	s_mov_b32 s3, 0
	s_mov_b32 s2, s17
	s_add_nc_u64 s[8:9], s[20:21], s[0:1]
	s_mul_u64 s[0:1], s[22:23], s[2:3]
	s_mov_b32 s7, 4
	v_ashrrev_i32_e32 v131, 16, v129
	v_ashrrev_i32_e32 v132, 8, v129
	;; [unrolled: 1-line block ×3, first 2 shown]
	;;#ASMSTART
	v_cvt_off_f32_i4 v152, v131
	;;#ASMEND
	v_ashrrev_i32_e32 v131, 20, v129
	v_ashrrev_i32_e32 v134, 4, v129
	;;#ASMSTART
	v_cvt_off_f32_i4 v153, v132
	;;#ASMEND
	;;#ASMSTART
	v_cvt_off_f32_i4 v154, v133
	;;#ASMEND
	;; [unrolled: 3-line block ×3, first 2 shown]
	v_ashrrev_i32_e32 v132, 12, v129
	v_ashrrev_i32_e32 v129, 28, v129
	;;#ASMSTART
	v_cvt_off_f32_i4 v156, v131
	;;#ASMEND
	v_ashrrev_i32_e32 v131, 16, v130
	v_ashrrev_i32_e32 v133, 8, v130
	;;#ASMSTART
	v_cvt_off_f32_i4 v157, v132
	;;#ASMEND
	;;#ASMSTART
	v_cvt_off_f32_i4 v158, v129
	;;#ASMEND
	;; [unrolled: 3-line block ×5, first 2 shown]
	v_ashrrev_i32_e32 v129, 24, v130
	v_ashrrev_i32_e32 v131, 4, v130
	;; [unrolled: 1-line block ×5, first 2 shown]
	;;#ASMSTART
	v_cvt_off_f32_i4 v162, v129
	;;#ASMEND
	;;#ASMSTART
	v_cvt_off_f32_i4 v163, v131
	;;#ASMEND
	;; [unrolled: 3-line block ×5, first 2 shown]
	ds_load_b64 v[129:130], v182 offset:16384
	s_wait_dscnt 0x0
	;;#ASMSTART
	v_cvt_off_f32_i4 v167, v129
	;;#ASMEND
	v_ashrrev_i32_e32 v131, 16, v129
	v_ashrrev_i32_e32 v132, 8, v129
	;;#ASMSTART
	v_cvt_off_f32_i4 v168, v131
	;;#ASMEND
	v_ashrrev_i32_e32 v131, 20, v129
	v_ashrrev_i32_e32 v133, 24, v129
	;; [unrolled: 1-line block ×3, first 2 shown]
	;;#ASMSTART
	v_cvt_off_f32_i4 v173, v132
	;;#ASMEND
	;;#ASMSTART
	v_cvt_off_f32_i4 v174, v133
	;;#ASMEND
	;;#ASMSTART
	v_cvt_off_f32_i4 v175, v134
	;;#ASMEND
	v_ashrrev_i32_e32 v132, 12, v129
	v_ashrrev_i32_e32 v129, 28, v129
	;;#ASMSTART
	v_cvt_off_f32_i4 v179, v131
	;;#ASMEND
	v_ashrrev_i32_e32 v131, 16, v130
	v_ashrrev_i32_e32 v133, 8, v130
	;;#ASMSTART
	v_cvt_off_f32_i4 v180, v132
	;;#ASMEND
	;;#ASMSTART
	v_cvt_off_f32_i4 v129, v129
	;;#ASMEND
	;; [unrolled: 3-line block ×4, first 2 shown]
	v_ashrrev_i32_e32 v131, 24, v130
	v_ashrrev_i32_e32 v132, 4, v130
	;;#ASMSTART
	v_cvt_off_f32_i4 v184, v133
	;;#ASMEND
	v_ashrrev_i32_e32 v133, 20, v130
	v_ashrrev_i32_e32 v134, 12, v130
	v_ashrrev_i32_e32 v130, 28, v130
	;;#ASMSTART
	v_cvt_off_f32_i4 v185, v131
	;;#ASMEND
	;;#ASMSTART
	v_cvt_off_f32_i4 v186, v132
	;;#ASMEND
	;; [unrolled: 3-line block ×5, first 2 shown]
	ds_load_b64 v[131:132], v181 offset:16384
	v_dual_mov_b32 v133, 0 :: v_dual_mov_b32 v134, 0
	s_wait_dscnt 0x0
	;;#ASMSTART
	v_cvt_off_f32_i4 v181, v131
	;;#ASMEND
	v_mov_b32_e32 v130, 0
	s_delay_alu instid0(VALU_DEP_2) | instskip(SKIP_2) | instid1(VALU_DEP_3)
	v_cvt_pk_fp8_f32 v133, v135, v136
	v_cvt_pk_fp8_f32 v134, v137, v138
	v_dual_mov_b32 v136, 0 :: v_dual_mov_b32 v135, 0
	v_cvt_pk_fp8_f32 v133, v139, v140 op_sel:[0,0,1]
	s_delay_alu instid0(VALU_DEP_3) | instskip(SKIP_1) | instid1(VALU_DEP_4)
	v_cvt_pk_fp8_f32 v134, v141, v142 op_sel:[0,0,1]
	v_mov_b32_e32 v141, 0
	v_cvt_pk_fp8_f32 v135, v143, v144
	v_mov_b32_e32 v142, 0
	s_delay_alu instid0(VALU_DEP_3) | instskip(NEXT) | instid1(VALU_DEP_3)
	v_cvt_pk_fp8_f32 v141, v167, v168
	v_cvt_pk_fp8_f32 v135, v147, v148 op_sel:[0,0,1]
	v_ashrrev_i32_e32 v137, 16, v131
	v_ashrrev_i32_e32 v138, 8, v131
	;; [unrolled: 1-line block ×3, first 2 shown]
	;;#ASMSTART
	v_cvt_off_f32_i4 v190, v137
	;;#ASMEND
	v_ashrrev_i32_e32 v137, 20, v131
	v_ashrrev_i32_e32 v140, 4, v131
	;;#ASMSTART
	v_cvt_off_f32_i4 v191, v138
	;;#ASMEND
	;;#ASMSTART
	v_cvt_off_f32_i4 v192, v139
	;;#ASMEND
	;; [unrolled: 3-line block ×3, first 2 shown]
	v_ashrrev_i32_e32 v138, 12, v131
	v_ashrrev_i32_e32 v131, 28, v131
	;;#ASMSTART
	v_cvt_off_f32_i4 v194, v137
	;;#ASMEND
	v_ashrrev_i32_e32 v137, 16, v132
	v_ashrrev_i32_e32 v139, 8, v132
	;;#ASMSTART
	v_cvt_off_f32_i4 v195, v138
	;;#ASMEND
	;;#ASMSTART
	v_cvt_off_f32_i4 v196, v131
	;;#ASMEND
	;; [unrolled: 3-line block ×5, first 2 shown]
	v_ashrrev_i32_e32 v131, 24, v132
	v_ashrrev_i32_e32 v137, 4, v132
	;; [unrolled: 1-line block ×5, first 2 shown]
	;;#ASMSTART
	v_cvt_off_f32_i4 v200, v131
	;;#ASMEND
	;;#ASMSTART
	v_cvt_off_f32_i4 v201, v137
	;;#ASMEND
	;; [unrolled: 3-line block ×5, first 2 shown]
	ds_load_b64 v[131:132], v178 offset:16384
	v_dual_mov_b32 v137, 0 :: v_dual_mov_b32 v138, 0
	v_dual_mov_b32 v139, 0 :: v_dual_mov_b32 v140, 0
	v_cvt_pk_fp8_f32 v136, v145, v146
	s_delay_alu instid0(VALU_DEP_3) | instskip(NEXT) | instid1(VALU_DEP_4)
	v_cvt_pk_fp8_f32 v137, v151, v152
	v_cvt_pk_fp8_f32 v138, v153, v154
	s_delay_alu instid0(VALU_DEP_4)
	v_cvt_pk_fp8_f32 v139, v159, v160
	v_cvt_pk_fp8_f32 v140, v161, v162
	s_wait_dscnt 0x0
	;;#ASMSTART
	v_cvt_off_f32_i4 v151, v131
	;;#ASMEND
	v_cvt_pk_fp8_f32 v137, v155, v156 op_sel:[0,0,1]
	v_cvt_pk_fp8_f32 v138, v157, v158 op_sel:[0,0,1]
	;; [unrolled: 1-line block ×6, first 2 shown]
	v_dual_mov_b32 v148, 0 :: v_dual_mov_b32 v149, 0
	v_mov_b32_e32 v147, 0
	v_ashrrev_i32_e32 v143, 16, v131
	v_ashrrev_i32_e32 v144, 8, v131
	v_ashrrev_i32_e32 v145, 24, v131
	;;#ASMSTART
	v_cvt_off_f32_i4 v152, v143
	;;#ASMEND
	v_ashrrev_i32_e32 v143, 20, v131
	v_ashrrev_i32_e32 v146, 4, v131
	;;#ASMSTART
	v_cvt_off_f32_i4 v153, v144
	;;#ASMEND
	;;#ASMSTART
	v_cvt_off_f32_i4 v154, v145
	;;#ASMEND
	;; [unrolled: 3-line block ×3, first 2 shown]
	v_ashrrev_i32_e32 v144, 12, v131
	v_ashrrev_i32_e32 v131, 28, v131
	;;#ASMSTART
	v_cvt_off_f32_i4 v156, v143
	;;#ASMEND
	v_ashrrev_i32_e32 v143, 16, v132
	v_ashrrev_i32_e32 v145, 8, v132
	;;#ASMSTART
	v_cvt_off_f32_i4 v157, v144
	;;#ASMEND
	;;#ASMSTART
	v_cvt_off_f32_i4 v158, v131
	;;#ASMEND
	;; [unrolled: 3-line block ×5, first 2 shown]
	v_ashrrev_i32_e32 v131, 24, v132
	v_ashrrev_i32_e32 v143, 4, v132
	;; [unrolled: 1-line block ×5, first 2 shown]
	;;#ASMSTART
	v_cvt_off_f32_i4 v162, v131
	;;#ASMEND
	;;#ASMSTART
	v_cvt_off_f32_i4 v163, v143
	;;#ASMEND
	;; [unrolled: 3-line block ×5, first 2 shown]
	ds_load_b64 v[131:132], v177 offset:16384
	v_mov_b32_e32 v143, 0
	v_cvt_pk_fp8_f32 v142, v173, v174
	v_dual_mov_b32 v144, 0 :: v_dual_mov_b32 v145, 0
	s_wait_dscnt 0x0
	;;#ASMSTART
	v_cvt_off_f32_i4 v167, v131
	;;#ASMEND
	v_cvt_pk_fp8_f32 v143, v182, v183
	v_cvt_pk_fp8_f32 v142, v180, v129 op_sel:[0,0,1]
	v_cvt_pk_fp8_f32 v144, v184, v185
	v_cvt_pk_fp8_f32 v145, v181, v190
	;; [unrolled: 1-line block ×3, first 2 shown]
	v_cvt_pk_fp8_f32 v143, v186, v187 op_sel:[0,0,1]
	v_dual_mov_b32 v151, 0 :: v_dual_mov_b32 v152, 0
	v_mov_b32_e32 v146, 0
	v_cvt_pk_fp8_f32 v144, v188, v189 op_sel:[0,0,1]
	v_cvt_pk_fp8_f32 v149, v155, v156 op_sel:[0,0,1]
	s_delay_alu instid0(VALU_DEP_4)
	v_cvt_pk_fp8_f32 v151, v159, v160
	v_mov_b32_e32 v155, 0
	v_cvt_pk_fp8_f32 v146, v191, v192
	v_ashrrev_i32_e32 v129, 16, v131
	v_ashrrev_i32_e32 v150, 8, v131
	;; [unrolled: 1-line block ×4, first 2 shown]
	;;#ASMSTART
	v_cvt_off_f32_i4 v129, v129
	;;#ASMEND
	;;#ASMSTART
	v_cvt_off_f32_i4 v174, v150
	;;#ASMEND
	v_ashrrev_i32_e32 v150, 20, v131
	;;#ASMSTART
	v_cvt_off_f32_i4 v168, v168
	;;#ASMEND
	;;#ASMSTART
	v_cvt_off_f32_i4 v173, v173
	;;#ASMEND
	v_ashrrev_i32_e32 v175, 12, v131
	v_ashrrev_i32_e32 v131, 28, v131
	;;#ASMSTART
	v_cvt_off_f32_i4 v177, v150
	;;#ASMEND
	v_ashrrev_i32_e32 v150, 16, v132
	v_ashrrev_i32_e32 v178, 8, v132
	;;#ASMSTART
	v_cvt_off_f32_i4 v175, v175
	;;#ASMEND
	;;#ASMSTART
	v_cvt_off_f32_i4 v179, v131
	;;#ASMEND
	;; [unrolled: 3-line block ×4, first 2 shown]
	v_ashrrev_i32_e32 v131, 24, v132
	v_ashrrev_i32_e32 v150, 4, v132
	;; [unrolled: 1-line block ×5, first 2 shown]
	;;#ASMSTART
	v_cvt_off_f32_i4 v178, v178
	;;#ASMEND
	;;#ASMSTART
	v_cvt_off_f32_i4 v184, v131
	;;#ASMEND
	;; [unrolled: 3-line block ×6, first 2 shown]
	ds_load_b64 v[131:132], v176 offset:16384
	v_mov_b32_e32 v150, 0
	v_cvt_pk_fp8_f32 v151, v163, v164 op_sel:[0,0,1]
	v_cvt_pk_fp8_f32 v145, v193, v194 op_sel:[0,0,1]
	v_mov_b32_e32 v156, 0
	v_mov_b32_e32 v160, 0
	v_cvt_pk_fp8_f32 v150, v153, v154
	v_dual_mov_b32 v153, 0 :: v_dual_mov_b32 v154, 0
	v_cvt_pk_fp8_f32 v152, v161, v162
	s_wait_dscnt 0x0
	;;#ASMSTART
	v_cvt_off_f32_i4 v161, v131
	;;#ASMEND
	v_cvt_pk_fp8_f32 v150, v157, v158 op_sel:[0,0,1]
	v_cvt_pk_fp8_f32 v153, v167, v129
	v_cvt_pk_fp8_f32 v154, v174, v168
	v_cvt_pk_fp8_f32 v152, v165, v166 op_sel:[0,0,1]
	v_cvt_pk_fp8_f32 v147, v197, v198
	v_cvt_pk_fp8_f32 v148, v199, v200
	;; [unrolled: 1-line block ×3, first 2 shown]
	v_cvt_pk_fp8_f32 v146, v195, v196 op_sel:[0,0,1]
	v_cvt_pk_fp8_f32 v153, v173, v177 op_sel:[0,0,1]
	v_ashrrev_i32_e32 v129, 16, v131
	v_ashrrev_i32_e32 v157, 8, v131
	;; [unrolled: 1-line block ×4, first 2 shown]
	;;#ASMSTART
	v_cvt_off_f32_i4 v129, v129
	;;#ASMEND
	;;#ASMSTART
	v_cvt_off_f32_i4 v162, v157
	;;#ASMEND
	v_ashrrev_i32_e32 v157, 20, v131
	;;#ASMSTART
	v_cvt_off_f32_i4 v163, v158
	;;#ASMEND
	;;#ASMSTART
	v_cvt_off_f32_i4 v164, v159
	;;#ASMEND
	v_ashrrev_i32_e32 v158, 12, v131
	v_ashrrev_i32_e32 v131, 28, v131
	;;#ASMSTART
	v_cvt_off_f32_i4 v167, v157
	;;#ASMEND
	v_ashrrev_i32_e32 v157, 16, v132
	v_ashrrev_i32_e32 v159, 8, v132
	;;#ASMSTART
	v_cvt_off_f32_i4 v168, v158
	;;#ASMEND
	;;#ASMSTART
	v_cvt_off_f32_i4 v174, v131
	;;#ASMEND
	;; [unrolled: 3-line block ×5, first 2 shown]
	v_ashrrev_i32_e32 v131, 24, v132
	v_ashrrev_i32_e32 v157, 4, v132
	;; [unrolled: 1-line block ×5, first 2 shown]
	;;#ASMSTART
	v_cvt_off_f32_i4 v189, v131
	;;#ASMEND
	;;#ASMSTART
	v_cvt_off_f32_i4 v190, v157
	;;#ASMEND
	;; [unrolled: 3-line block ×5, first 2 shown]
	ds_load_b64 v[131:132], v172 offset:16384
	v_dual_mov_b32 v157, 0 :: v_dual_mov_b32 v158, 0
	v_mov_b32_e32 v159, 0
	v_cvt_pk_fp8_f32 v156, v178, v184
	v_cvt_pk_fp8_f32 v147, v201, v202 op_sel:[0,0,1]
	s_delay_alu instid0(VALU_DEP_4)
	v_cvt_pk_fp8_f32 v157, v161, v129
	v_mov_b32_e32 v161, 0
	v_cvt_pk_fp8_f32 v158, v162, v163
	s_wait_dscnt 0x0
	;;#ASMSTART
	v_cvt_off_f32_i4 v162, v131
	;;#ASMEND
	v_cvt_pk_fp8_f32 v159, v176, v187
	v_cvt_pk_fp8_f32 v157, v164, v167 op_sel:[0,0,1]
	v_cvt_pk_fp8_f32 v160, v188, v189
	v_cvt_pk_fp8_f32 v148, v203, v204 op_sel:[0,0,1]
	v_cvt_pk_fp8_f32 v154, v175, v179 op_sel:[0,0,1]
	;; [unrolled: 1-line block ×7, first 2 shown]
	v_ashrrev_i32_e32 v129, 16, v131
	;;#ASMSTART
	v_cvt_off_f32_i4 v129, v129
	;;#ASMEND
	s_delay_alu instid0(VALU_DEP_1)
	v_cvt_pk_fp8_f32 v161, v162, v129
	v_mov_b32_e32 v162, 0
	v_ashrrev_i32_e32 v163, 8, v131
	v_ashrrev_i32_e32 v164, 24, v131
	;;#ASMSTART
	v_cvt_off_f32_i4 v129, v163
	;;#ASMEND
	;;#ASMSTART
	v_cvt_off_f32_i4 v163, v164
	;;#ASMEND
	s_delay_alu instid0(VALU_DEP_2)
	v_cvt_pk_fp8_f32 v162, v129, v163
	v_ashrrev_i32_e32 v164, 4, v131
	v_ashrrev_i32_e32 v129, 12, v131
	;; [unrolled: 1-line block ×4, first 2 shown]
	;;#ASMSTART
	v_cvt_off_f32_i4 v163, v164
	;;#ASMEND
	;;#ASMSTART
	v_cvt_off_f32_i4 v164, v165
	;;#ASMEND
	;; [unrolled: 3-line block ×4, first 2 shown]
	v_cvt_pk_fp8_f32 v162, v129, v131 op_sel:[0,0,1]
	v_mov_b32_e32 v129, 0
	v_ashrrev_i32_e32 v131, 16, v132
	v_cvt_pk_fp8_f32 v161, v163, v164 op_sel:[0,0,1]
	v_ashrrev_i32_e32 v163, 8, v132
	;;#ASMSTART
	v_cvt_off_f32_i4 v165, v132
	;;#ASMEND
	;;#ASMSTART
	v_cvt_off_f32_i4 v131, v131
	;;#ASMEND
	v_ashrrev_i32_e32 v164, 24, v132
	v_cvt_pk_fp8_f32 v129, v165, v131
	;;#ASMSTART
	v_cvt_off_f32_i4 v131, v163
	;;#ASMEND
	;;#ASMSTART
	v_cvt_off_f32_i4 v163, v164
	;;#ASMEND
	v_cvt_pk_fp8_f32 v130, v131, v163
	v_ashrrev_i32_e32 v164, 4, v132
	v_ashrrev_i32_e32 v165, 20, v132
	v_ashrrev_i32_e32 v131, 12, v132
	v_ashrrev_i32_e32 v132, 28, v132
	;;#ASMSTART
	v_cvt_off_f32_i4 v163, v164
	;;#ASMEND
	;;#ASMSTART
	v_cvt_off_f32_i4 v164, v165
	;;#ASMEND
	v_cvt_pk_fp8_f32 v129, v163, v164 op_sel:[0,0,1]
	;;#ASMSTART
	v_cvt_off_f32_i4 v131, v131
	;;#ASMEND
	;;#ASMSTART
	v_cvt_off_f32_i4 v132, v132
	;;#ASMEND
	v_cvt_pk_fp8_f32 v130, v131, v132 op_sel:[0,0,1]
	; sched_barrier mask(0x00000000)
	s_barrier_signal -1
	s_barrier_wait -1
	; sched_barrier mask(0x00000000)
	v_wmma_f32_16x16x16_fp8_fp8 v[57:64], v[133:134], v[121:122], v[57:64]
	s_delay_alu instid0(VALU_DEP_1)
	v_wmma_f32_16x16x16_fp8_fp8 v[57:64], v[135:136], v[123:124], v[57:64]
	; sched_barrier mask(0x00000000)
	s_setprio 1
	; sched_barrier mask(0x00000000)
	v_wmma_f32_16x16x16_fp8_fp8 v[49:56], v[149:150], v[121:122], v[49:56]
	v_wmma_f32_16x16x16_fp8_fp8 v[33:40], v[133:134], v[117:118], v[33:40]
	;; [unrolled: 1-line block ×60, first 2 shown]
	; sched_barrier mask(0x00000000)
	s_wait_dscnt 0x0
	s_barrier_signal -1
	s_barrier_wait -1
	; sched_barrier mask(0x00000000)
	v_wmma_f32_16x16x16_fp8_fp8 v[1:8], v[161:162], v[65:66], v[1:8]
	s_delay_alu instid0(VALU_DEP_1)
	v_wmma_f32_16x16x16_fp8_fp8 v[1:8], v[129:130], v[67:68], v[1:8]
	; sched_barrier mask(0x00000000)
	s_setprio 0
	; sched_barrier mask(0x00000000)
	v_lshlrev_b32_e32 v0, 3, v0
	v_and_b32_e32 v65, 56, v169
	v_lshl_or_b32 v66, s19, 7, v170
	v_cvt_f16_f32_e32 v69, v60
	v_cvt_f16_f32_e32 v63, v63
	v_and_b32_e32 v68, 56, v0
	v_lshlrev_b32_e32 v60, 1, v65
	v_cvt_f16_f32_e32 v64, v64
	v_cvt_f16_f32_e32 v67, v59
	;; [unrolled: 1-line block ×3, first 2 shown]
	v_or_b32_e32 v0, s6, v68
	v_cvt_f16_f32_e32 v65, v62
	v_cvt_f16_f32_e32 v57, v57
	v_lshl_or_b32 v70, v171, 7, v60
	v_pack_b32_f16 v60, v63, v64
	v_mad_co_u64_u32 v[61:62], null, v66, s17, v[0:1]
	v_cvt_f16_f32_e32 v62, v58
	v_lshlrev_b32_e32 v63, 1, v68
	v_pack_b32_f16 v59, v59, v65
	v_pack_b32_f16 v58, v67, v69
	s_wait_dscnt 0x0
	v_pack_b32_f16 v57, v57, v62
	v_lshl_or_b32 v62, v170, 7, v63
	s_barrier_signal -1
	s_barrier_wait -1
	v_cmp_gt_i32_e32 vcc_lo, s5, v0
	ds_store_b128 v70, v[57:60]
	s_wait_dscnt 0x0
	s_barrier_signal -1
	s_barrier_wait -1
	ds_load_b64 v[57:58], v62
	v_cmp_gt_i32_e64 s3, s4, v66
	v_lshlrev_b32_e32 v59, 1, v61
	s_mov_b32 s11, 0x31004000
	v_cvt_f16_f32_e32 v49, v49
	v_cvt_f16_f32_e32 v54, v54
	s_and_b32 s0, s3, vcc_lo
	v_cvt_f16_f32_e32 v63, v52
	v_cndmask_b32_e64 v60, 0x80000000, 0, s0
	s_add_co_i32 s0, s5, s1
	v_cvt_f16_f32_e32 v64, v50
	s_wait_alu 0xfffe
	s_lshl_b32 s10, s0, 1
	v_cvt_f16_f32_e32 v41, v41
	v_add_nc_u32_e32 v60, v60, v59
	v_cvt_f16_f32_e32 v48, v48
	s_wait_dscnt 0x0
	s_clause 0x1
	buffer_atomic_pk_add_f16 v57, v60, s[8:11], null offen
	buffer_atomic_pk_add_f16 v58, v60, s[8:11], s7 offen
	v_or_b32_e32 v60, 4, v0
	ds_load_b64 v[57:58], v62 offset:8
	v_pack_b32_f16 v49, v49, v64
	v_cvt_f16_f32_e32 v46, v46
	v_cvt_f16_f32_e32 v40, v40
	v_cmp_gt_i32_e64 s0, s5, v60
	v_cvt_f16_f32_e32 v60, v51
	v_cvt_f16_f32_e32 v51, v53
	;; [unrolled: 1-line block ×4, first 2 shown]
	s_and_b32 s1, s3, s0
	v_pack_b32_f16 v50, v60, v63
	s_wait_alu 0xfffe
	v_cndmask_b32_e64 v56, 0x80000000, 0, s1
	v_pack_b32_f16 v51, v51, v54
	v_pack_b32_f16 v52, v53, v55
	v_or_b32_e32 v54, 64, v0
	v_or_b32_e32 v0, 0x44, v0
	v_add_nc_u32_e32 v53, v59, v56
	s_wait_dscnt 0x0
	s_clause 0x1
	buffer_atomic_pk_add_f16 v57, v53, s[8:11], null offen offset:8
	buffer_atomic_pk_add_f16 v58, v53, s[8:11], s7 offen offset:8
	s_wait_dscnt 0x0
	s_barrier_signal -1
	s_barrier_wait -1
	ds_store_b128 v70, v[49:52]
	s_wait_dscnt 0x0
	s_barrier_signal -1
	s_barrier_wait -1
	ds_load_b64 v[49:50], v62
	v_cmp_gt_i32_e64 s1, s5, v54
	v_add_nc_u32_e32 v51, 64, v61
	v_or_b32_e32 v53, 32, v66
	v_cvt_f16_f32_e32 v38, v38
	v_cvt_f16_f32_e32 v25, v25
	s_and_b32 s2, s3, s1
	v_cvt_f16_f32_e32 v32, v32
	v_cndmask_b32_e64 v52, 0x80000000, 0, s2
	v_cmp_gt_i32_e64 s2, s5, v0
	v_cvt_f16_f32_e32 v0, v42
	v_cvt_f16_f32_e32 v42, v43
	;; [unrolled: 1-line block ×3, first 2 shown]
	v_lshl_add_u32 v52, v51, 1, v52
	s_wait_dscnt 0x0
	s_clause 0x1
	buffer_atomic_pk_add_f16 v49, v52, s[8:11], null offen
	buffer_atomic_pk_add_f16 v50, v52, s[8:11], s7 offen
	ds_load_b64 v[49:50], v62 offset:8
	s_and_b32 s3, s3, s2
	v_cvt_f16_f32_e32 v45, v47
	s_wait_alu 0xfffe
	v_cndmask_b32_e64 v47, 0x80000000, 0, s3
	v_cvt_f16_f32_e32 v52, v44
	v_pack_b32_f16 v43, v43, v46
	v_pack_b32_f16 v41, v41, v0
	;; [unrolled: 1-line block ×3, first 2 shown]
	v_add_nc_u32_e32 v47, v59, v47
	v_pack_b32_f16 v42, v42, v52
	s_wait_dscnt 0x0
	s_clause 0x1
	buffer_atomic_pk_add_f16 v49, v47, s[8:11], null offen offset:136
	buffer_atomic_pk_add_f16 v50, v47, s[8:11], s7 offen offset:136
	s_wait_dscnt 0x0
	s_barrier_signal -1
	s_barrier_wait -1
	ds_store_b128 v70, v[41:44]
	s_wait_dscnt 0x0
	s_barrier_signal -1
	s_barrier_wait -1
	ds_load_b64 v[41:42], v62
	v_cmp_gt_i32_e64 s3, s4, v53
	s_lshl_b32 s5, s17, 5
	v_cvt_f16_f32_e32 v44, v36
	s_wait_alu 0xfffe
	v_add_lshl_u32 v43, v51, s5, 1
	v_cvt_f16_f32_e32 v45, v34
	s_and_b32 s6, s3, s1
	v_cvt_f16_f32_e32 v30, v30
	s_wait_alu 0xfffe
	v_cndmask_b32_e64 v0, 0x80000000, 0, s6
	s_and_b32 s6, s3, s2
	v_cvt_f16_f32_e32 v24, v24
	v_cvt_f16_f32_e32 v22, v22
	;; [unrolled: 1-line block ×3, first 2 shown]
	v_add_nc_u32_e32 v0, v43, v0
	s_wait_dscnt 0x0
	s_clause 0x1
	buffer_atomic_pk_add_f16 v41, v0, s[8:11], null offen
	buffer_atomic_pk_add_f16 v42, v0, s[8:11], s7 offen
	ds_load_b64 v[41:42], v62 offset:8
	v_cvt_f16_f32_e32 v0, v33
	v_cvt_f16_f32_e32 v33, v35
	;; [unrolled: 1-line block ×4, first 2 shown]
	v_cndmask_b32_e64 v39, 0x80000008, 8, s6
	s_and_b32 s6, vcc_lo, s3
	v_pack_b32_f16 v34, v33, v44
	v_pack_b32_f16 v35, v35, v38
	;; [unrolled: 1-line block ×3, first 2 shown]
	v_add_nc_u32_e32 v39, v43, v39
	v_pack_b32_f16 v33, v0, v45
	s_wait_dscnt 0x0
	s_clause 0x1
	buffer_atomic_pk_add_f16 v41, v39, s[8:11], null offen
	buffer_atomic_pk_add_f16 v42, v39, s[8:11], s7 offen
	s_wait_dscnt 0x0
	s_barrier_signal -1
	s_barrier_wait -1
	ds_store_b128 v70, v[33:36]
	s_wait_dscnt 0x0
	s_barrier_signal -1
	s_barrier_wait -1
	ds_load_b64 v[33:34], v62
	v_add_nc_u32_e32 v0, s5, v61
	v_cndmask_b32_e64 v35, 0x80000000, 0, s6
	s_and_b32 s3, s3, s0
	v_cvt_f16_f32_e32 v37, v28
	v_or_b32_e32 v38, 64, v66
	v_lshlrev_b32_e32 v36, 1, v0
	v_cvt_f16_f32_e32 v4, v4
	v_cvt_f16_f32_e32 v10, v10
	s_delay_alu instid0(VALU_DEP_3)
	v_add_nc_u32_e32 v35, v35, v36
	s_wait_dscnt 0x0
	s_clause 0x1
	buffer_atomic_pk_add_f16 v33, v35, s[8:11], null offen
	buffer_atomic_pk_add_f16 v34, v35, s[8:11], s7 offen
	ds_load_b64 v[33:34], v62 offset:8
	v_cvt_f16_f32_e32 v35, v26
	v_cvt_f16_f32_e32 v26, v27
	v_cvt_f16_f32_e32 v27, v29
	v_cvt_f16_f32_e32 v29, v31
	v_cndmask_b32_e64 v31, 0x80000000, 0, s3
	v_pack_b32_f16 v25, v25, v35
	v_pack_b32_f16 v26, v26, v37
	;; [unrolled: 1-line block ×4, first 2 shown]
	v_add_nc_u32_e32 v31, v36, v31
	s_wait_dscnt 0x0
	s_clause 0x1
	buffer_atomic_pk_add_f16 v33, v31, s[8:11], null offen offset:8
	buffer_atomic_pk_add_f16 v34, v31, s[8:11], s7 offen offset:8
	s_wait_dscnt 0x0
	s_barrier_signal -1
	s_barrier_wait -1
	ds_store_b128 v70, v[25:28]
	s_wait_dscnt 0x0
	s_barrier_signal -1
	s_barrier_wait -1
	ds_load_b64 v[25:26], v62
	v_cmp_gt_i32_e64 s3, s4, v38
	v_add_nc_u32_e32 v27, s5, v0
	v_cvt_f16_f32_e32 v29, v20
	v_cvt_f16_f32_e32 v30, v18
	s_and_b32 s6, vcc_lo, s3
	s_delay_alu instid0(VALU_DEP_3) | instskip(SKIP_3) | instid1(VALU_DEP_1)
	v_lshlrev_b32_e32 v28, 1, v27
	s_wait_alu 0xfffe
	v_cndmask_b32_e64 v0, 0x80000000, 0, s6
	s_and_b32 s6, s3, s0
	v_add_nc_u32_e32 v0, v28, v0
	s_wait_dscnt 0x0
	s_clause 0x1
	buffer_atomic_pk_add_f16 v25, v0, s[8:11], null offen
	buffer_atomic_pk_add_f16 v26, v0, s[8:11], s7 offen
	ds_load_b64 v[25:26], v62 offset:8
	v_cvt_f16_f32_e32 v0, v17
	v_cvt_f16_f32_e32 v17, v19
	;; [unrolled: 1-line block ×4, first 2 shown]
	v_cndmask_b32_e64 v23, 0x80000008, 8, s6
	s_and_b32 s6, s3, s1
	v_pack_b32_f16 v18, v17, v29
	v_pack_b32_f16 v19, v19, v22
	;; [unrolled: 1-line block ×3, first 2 shown]
	v_add_nc_u32_e32 v23, v28, v23
	v_pack_b32_f16 v17, v0, v30
	s_wait_dscnt 0x0
	s_clause 0x1
	buffer_atomic_pk_add_f16 v25, v23, s[8:11], null offen
	buffer_atomic_pk_add_f16 v26, v23, s[8:11], s7 offen
	s_wait_dscnt 0x0
	s_barrier_signal -1
	s_barrier_wait -1
	ds_store_b128 v70, v[17:20]
	s_wait_dscnt 0x0
	s_barrier_signal -1
	s_barrier_wait -1
	ds_load_b64 v[17:18], v62
	v_cndmask_b32_e64 v0, 0x80000000, 0, s6
	v_add_nc_u32_e32 v19, 64, v27
	s_and_b32 s3, s3, s2
	v_cvt_f16_f32_e32 v20, v1
	v_cvt_f16_f32_e32 v21, v2
	;; [unrolled: 1-line block ×3, first 2 shown]
	v_lshl_add_u32 v0, v19, 1, v0
	s_wait_dscnt 0x0
	s_clause 0x1
	buffer_atomic_pk_add_f16 v17, v0, s[8:11], null offen
	buffer_atomic_pk_add_f16 v18, v0, s[8:11], s7 offen
	ds_load_b64 v[17:18], v62 offset:8
	v_mov_b32_e32 v0, 0x88
	v_cvt_f16_f32_e32 v2, v5
	v_cvt_f16_f32_e32 v3, v7
	;; [unrolled: 1-line block ×3, first 2 shown]
	v_pack_b32_f16 v1, v1, v4
	v_cndmask_b32_e64 v0, 0x80000088, v0, s3
	v_pack_b32_f16 v2, v2, v6
	v_or_b32_e32 v7, 0x60, v66
	v_pack_b32_f16 v3, v3, v5
	v_cvt_f16_f32_e32 v6, v15
	v_add_nc_u32_e32 v8, v28, v0
	v_pack_b32_f16 v0, v20, v21
	s_wait_dscnt 0x0
	s_clause 0x1
	buffer_atomic_pk_add_f16 v17, v8, s[8:11], null offen
	buffer_atomic_pk_add_f16 v18, v8, s[8:11], s7 offen
	s_wait_dscnt 0x0
	s_barrier_signal -1
	s_barrier_wait -1
	ds_store_b128 v70, v[0:3]
	s_wait_dscnt 0x0
	s_barrier_signal -1
	s_barrier_wait -1
	ds_load_b64 v[0:1], v62
	v_cmp_gt_i32_e64 s3, s4, v7
	v_add_lshl_u32 v3, v19, s5, 1
	v_cvt_f16_f32_e32 v8, v16
	s_and_b32 s1, s3, s1
	s_and_b32 s0, s3, s0
	s_wait_alu 0xfffe
	v_cndmask_b32_e64 v2, 0x80000000, 0, s1
	s_and_b32 s1, s3, s2
	s_wait_alu 0xfffe
	v_cndmask_b32_e64 v7, 0x80000008, 8, s1
	s_and_b32 s1, vcc_lo, s3
	v_add_nc_u32_e32 v2, v3, v2
	s_wait_dscnt 0x0
	s_clause 0x1
	buffer_atomic_pk_add_f16 v0, v2, s[8:11], null offen
	buffer_atomic_pk_add_f16 v1, v2, s[8:11], s7 offen
	ds_load_b64 v[4:5], v62 offset:8
	v_cvt_f16_f32_e32 v0, v9
	v_cvt_f16_f32_e32 v1, v11
	;; [unrolled: 1-line block ×5, first 2 shown]
	v_add_nc_u32_e32 v7, v3, v7
	v_pack_b32_f16 v3, v6, v8
	v_pack_b32_f16 v0, v0, v10
	;; [unrolled: 1-line block ×4, first 2 shown]
	s_wait_dscnt 0x0
	s_clause 0x1
	buffer_atomic_pk_add_f16 v4, v7, s[8:11], null offen
	buffer_atomic_pk_add_f16 v5, v7, s[8:11], s7 offen
	s_wait_dscnt 0x0
	s_barrier_signal -1
	s_barrier_wait -1
	ds_store_b128 v70, v[0:3]
	s_wait_dscnt 0x0
	s_barrier_signal -1
	s_barrier_wait -1
	ds_load_b64 v[0:1], v62
	v_add_lshl_u32 v2, v27, s5, 1
	v_cndmask_b32_e64 v3, 0x80000000, 0, s1
	s_delay_alu instid0(VALU_DEP_1)
	v_add_nc_u32_e32 v3, v2, v3
	s_wait_dscnt 0x0
	s_clause 0x1
	buffer_atomic_pk_add_f16 v0, v3, s[8:11], null offen
	buffer_atomic_pk_add_f16 v1, v3, s[8:11], s7 offen
	ds_load_b64 v[0:1], v62 offset:8
	v_cndmask_b32_e64 v3, 0x80000008, 8, s0
	s_delay_alu instid0(VALU_DEP_1)
	v_add_nc_u32_e32 v2, v2, v3
	s_wait_dscnt 0x0
	s_clause 0x1
	buffer_atomic_pk_add_f16 v0, v2, s[8:11], null offen
	buffer_atomic_pk_add_f16 v1, v2, s[8:11], s7 offen
	s_nop 0
	s_sendmsg sendmsg(MSG_DEALLOC_VGPRS)
	s_endpgm
	.section	.rodata,"a",@progbits
	.p2align	6, 0x0
	.amdhsa_kernel _ZN2ck27kernel_gemm_xdl_cshuffle_v3INS_28GridwiseGemm_xdl_cshuffle_v3INS_13tensor_layout4gemm8RowMajorENS3_11ColumnMajorES4_NS_9f8_fnuz_tENS_7pk_i4_tEfDF16_DF16_NS_16tensor_operation12element_wise11PassThroughESA_SA_LNS8_6device18GemmSpecializationE0ELi256ELi128ELi128ELi128ELi16ELi16ELi16ELi16ELi4ELi2ENS_8SequenceIJLi8ELi32ELi1EEEENSD_IJLi1ELi0ELi2EEEESF_Li2ELi16ELi16ELb0ELi0ENSD_IJLi4ELi64ELi1EEEESF_SF_Li2ELi16ELi16ELb0ELi0ELi1ELi1ENSD_IJLi1ELi32ELi1ELi8EEEELi4ELNS_26BlockGemmPipelineSchedulerE1ELNS_24BlockGemmPipelineVersionE1ES6_S6_Lb0ELb1ELb0ELi0ELb0EEELb1ELNS_25InMemoryDataOperationEnumE1ELi2ELNS_10TailNumberE2EEEvNT_8ArgumentE
		.amdhsa_group_segment_fixed_size 24576
		.amdhsa_private_segment_fixed_size 0
		.amdhsa_kernarg_size 112
		.amdhsa_user_sgpr_count 2
		.amdhsa_user_sgpr_dispatch_ptr 0
		.amdhsa_user_sgpr_queue_ptr 0
		.amdhsa_user_sgpr_kernarg_segment_ptr 1
		.amdhsa_user_sgpr_dispatch_id 0
		.amdhsa_user_sgpr_private_segment_size 0
		.amdhsa_wavefront_size32 1
		.amdhsa_uses_dynamic_stack 0
		.amdhsa_enable_private_segment 0
		.amdhsa_system_sgpr_workgroup_id_x 1
		.amdhsa_system_sgpr_workgroup_id_y 0
		.amdhsa_system_sgpr_workgroup_id_z 1
		.amdhsa_system_sgpr_workgroup_info 0
		.amdhsa_system_vgpr_workitem_id 0
		.amdhsa_next_free_vgpr 232
		.amdhsa_next_free_sgpr 32
		.amdhsa_reserve_vcc 1
		.amdhsa_float_round_mode_32 0
		.amdhsa_float_round_mode_16_64 0
		.amdhsa_float_denorm_mode_32 3
		.amdhsa_float_denorm_mode_16_64 3
		.amdhsa_fp16_overflow 0
		.amdhsa_workgroup_processor_mode 1
		.amdhsa_memory_ordered 1
		.amdhsa_forward_progress 1
		.amdhsa_inst_pref_size 91
		.amdhsa_round_robin_scheduling 0
		.amdhsa_exception_fp_ieee_invalid_op 0
		.amdhsa_exception_fp_denorm_src 0
		.amdhsa_exception_fp_ieee_div_zero 0
		.amdhsa_exception_fp_ieee_overflow 0
		.amdhsa_exception_fp_ieee_underflow 0
		.amdhsa_exception_fp_ieee_inexact 0
		.amdhsa_exception_int_div_zero 0
	.end_amdhsa_kernel
	.section	.text._ZN2ck27kernel_gemm_xdl_cshuffle_v3INS_28GridwiseGemm_xdl_cshuffle_v3INS_13tensor_layout4gemm8RowMajorENS3_11ColumnMajorES4_NS_9f8_fnuz_tENS_7pk_i4_tEfDF16_DF16_NS_16tensor_operation12element_wise11PassThroughESA_SA_LNS8_6device18GemmSpecializationE0ELi256ELi128ELi128ELi128ELi16ELi16ELi16ELi16ELi4ELi2ENS_8SequenceIJLi8ELi32ELi1EEEENSD_IJLi1ELi0ELi2EEEESF_Li2ELi16ELi16ELb0ELi0ENSD_IJLi4ELi64ELi1EEEESF_SF_Li2ELi16ELi16ELb0ELi0ELi1ELi1ENSD_IJLi1ELi32ELi1ELi8EEEELi4ELNS_26BlockGemmPipelineSchedulerE1ELNS_24BlockGemmPipelineVersionE1ES6_S6_Lb0ELb1ELb0ELi0ELb0EEELb1ELNS_25InMemoryDataOperationEnumE1ELi2ELNS_10TailNumberE2EEEvNT_8ArgumentE,"axG",@progbits,_ZN2ck27kernel_gemm_xdl_cshuffle_v3INS_28GridwiseGemm_xdl_cshuffle_v3INS_13tensor_layout4gemm8RowMajorENS3_11ColumnMajorES4_NS_9f8_fnuz_tENS_7pk_i4_tEfDF16_DF16_NS_16tensor_operation12element_wise11PassThroughESA_SA_LNS8_6device18GemmSpecializationE0ELi256ELi128ELi128ELi128ELi16ELi16ELi16ELi16ELi4ELi2ENS_8SequenceIJLi8ELi32ELi1EEEENSD_IJLi1ELi0ELi2EEEESF_Li2ELi16ELi16ELb0ELi0ENSD_IJLi4ELi64ELi1EEEESF_SF_Li2ELi16ELi16ELb0ELi0ELi1ELi1ENSD_IJLi1ELi32ELi1ELi8EEEELi4ELNS_26BlockGemmPipelineSchedulerE1ELNS_24BlockGemmPipelineVersionE1ES6_S6_Lb0ELb1ELb0ELi0ELb0EEELb1ELNS_25InMemoryDataOperationEnumE1ELi2ELNS_10TailNumberE2EEEvNT_8ArgumentE,comdat
.Lfunc_end5:
	.size	_ZN2ck27kernel_gemm_xdl_cshuffle_v3INS_28GridwiseGemm_xdl_cshuffle_v3INS_13tensor_layout4gemm8RowMajorENS3_11ColumnMajorES4_NS_9f8_fnuz_tENS_7pk_i4_tEfDF16_DF16_NS_16tensor_operation12element_wise11PassThroughESA_SA_LNS8_6device18GemmSpecializationE0ELi256ELi128ELi128ELi128ELi16ELi16ELi16ELi16ELi4ELi2ENS_8SequenceIJLi8ELi32ELi1EEEENSD_IJLi1ELi0ELi2EEEESF_Li2ELi16ELi16ELb0ELi0ENSD_IJLi4ELi64ELi1EEEESF_SF_Li2ELi16ELi16ELb0ELi0ELi1ELi1ENSD_IJLi1ELi32ELi1ELi8EEEELi4ELNS_26BlockGemmPipelineSchedulerE1ELNS_24BlockGemmPipelineVersionE1ES6_S6_Lb0ELb1ELb0ELi0ELb0EEELb1ELNS_25InMemoryDataOperationEnumE1ELi2ELNS_10TailNumberE2EEEvNT_8ArgumentE, .Lfunc_end5-_ZN2ck27kernel_gemm_xdl_cshuffle_v3INS_28GridwiseGemm_xdl_cshuffle_v3INS_13tensor_layout4gemm8RowMajorENS3_11ColumnMajorES4_NS_9f8_fnuz_tENS_7pk_i4_tEfDF16_DF16_NS_16tensor_operation12element_wise11PassThroughESA_SA_LNS8_6device18GemmSpecializationE0ELi256ELi128ELi128ELi128ELi16ELi16ELi16ELi16ELi4ELi2ENS_8SequenceIJLi8ELi32ELi1EEEENSD_IJLi1ELi0ELi2EEEESF_Li2ELi16ELi16ELb0ELi0ENSD_IJLi4ELi64ELi1EEEESF_SF_Li2ELi16ELi16ELb0ELi0ELi1ELi1ENSD_IJLi1ELi32ELi1ELi8EEEELi4ELNS_26BlockGemmPipelineSchedulerE1ELNS_24BlockGemmPipelineVersionE1ES6_S6_Lb0ELb1ELb0ELi0ELb0EEELb1ELNS_25InMemoryDataOperationEnumE1ELi2ELNS_10TailNumberE2EEEvNT_8ArgumentE
                                        ; -- End function
	.set _ZN2ck27kernel_gemm_xdl_cshuffle_v3INS_28GridwiseGemm_xdl_cshuffle_v3INS_13tensor_layout4gemm8RowMajorENS3_11ColumnMajorES4_NS_9f8_fnuz_tENS_7pk_i4_tEfDF16_DF16_NS_16tensor_operation12element_wise11PassThroughESA_SA_LNS8_6device18GemmSpecializationE0ELi256ELi128ELi128ELi128ELi16ELi16ELi16ELi16ELi4ELi2ENS_8SequenceIJLi8ELi32ELi1EEEENSD_IJLi1ELi0ELi2EEEESF_Li2ELi16ELi16ELb0ELi0ENSD_IJLi4ELi64ELi1EEEESF_SF_Li2ELi16ELi16ELb0ELi0ELi1ELi1ENSD_IJLi1ELi32ELi1ELi8EEEELi4ELNS_26BlockGemmPipelineSchedulerE1ELNS_24BlockGemmPipelineVersionE1ES6_S6_Lb0ELb1ELb0ELi0ELb0EEELb1ELNS_25InMemoryDataOperationEnumE1ELi2ELNS_10TailNumberE2EEEvNT_8ArgumentE.num_vgpr, 232
	.set _ZN2ck27kernel_gemm_xdl_cshuffle_v3INS_28GridwiseGemm_xdl_cshuffle_v3INS_13tensor_layout4gemm8RowMajorENS3_11ColumnMajorES4_NS_9f8_fnuz_tENS_7pk_i4_tEfDF16_DF16_NS_16tensor_operation12element_wise11PassThroughESA_SA_LNS8_6device18GemmSpecializationE0ELi256ELi128ELi128ELi128ELi16ELi16ELi16ELi16ELi4ELi2ENS_8SequenceIJLi8ELi32ELi1EEEENSD_IJLi1ELi0ELi2EEEESF_Li2ELi16ELi16ELb0ELi0ENSD_IJLi4ELi64ELi1EEEESF_SF_Li2ELi16ELi16ELb0ELi0ELi1ELi1ENSD_IJLi1ELi32ELi1ELi8EEEELi4ELNS_26BlockGemmPipelineSchedulerE1ELNS_24BlockGemmPipelineVersionE1ES6_S6_Lb0ELb1ELb0ELi0ELb0EEELb1ELNS_25InMemoryDataOperationEnumE1ELi2ELNS_10TailNumberE2EEEvNT_8ArgumentE.num_agpr, 0
	.set _ZN2ck27kernel_gemm_xdl_cshuffle_v3INS_28GridwiseGemm_xdl_cshuffle_v3INS_13tensor_layout4gemm8RowMajorENS3_11ColumnMajorES4_NS_9f8_fnuz_tENS_7pk_i4_tEfDF16_DF16_NS_16tensor_operation12element_wise11PassThroughESA_SA_LNS8_6device18GemmSpecializationE0ELi256ELi128ELi128ELi128ELi16ELi16ELi16ELi16ELi4ELi2ENS_8SequenceIJLi8ELi32ELi1EEEENSD_IJLi1ELi0ELi2EEEESF_Li2ELi16ELi16ELb0ELi0ENSD_IJLi4ELi64ELi1EEEESF_SF_Li2ELi16ELi16ELb0ELi0ELi1ELi1ENSD_IJLi1ELi32ELi1ELi8EEEELi4ELNS_26BlockGemmPipelineSchedulerE1ELNS_24BlockGemmPipelineVersionE1ES6_S6_Lb0ELb1ELb0ELi0ELb0EEELb1ELNS_25InMemoryDataOperationEnumE1ELi2ELNS_10TailNumberE2EEEvNT_8ArgumentE.numbered_sgpr, 32
	.set _ZN2ck27kernel_gemm_xdl_cshuffle_v3INS_28GridwiseGemm_xdl_cshuffle_v3INS_13tensor_layout4gemm8RowMajorENS3_11ColumnMajorES4_NS_9f8_fnuz_tENS_7pk_i4_tEfDF16_DF16_NS_16tensor_operation12element_wise11PassThroughESA_SA_LNS8_6device18GemmSpecializationE0ELi256ELi128ELi128ELi128ELi16ELi16ELi16ELi16ELi4ELi2ENS_8SequenceIJLi8ELi32ELi1EEEENSD_IJLi1ELi0ELi2EEEESF_Li2ELi16ELi16ELb0ELi0ENSD_IJLi4ELi64ELi1EEEESF_SF_Li2ELi16ELi16ELb0ELi0ELi1ELi1ENSD_IJLi1ELi32ELi1ELi8EEEELi4ELNS_26BlockGemmPipelineSchedulerE1ELNS_24BlockGemmPipelineVersionE1ES6_S6_Lb0ELb1ELb0ELi0ELb0EEELb1ELNS_25InMemoryDataOperationEnumE1ELi2ELNS_10TailNumberE2EEEvNT_8ArgumentE.num_named_barrier, 0
	.set _ZN2ck27kernel_gemm_xdl_cshuffle_v3INS_28GridwiseGemm_xdl_cshuffle_v3INS_13tensor_layout4gemm8RowMajorENS3_11ColumnMajorES4_NS_9f8_fnuz_tENS_7pk_i4_tEfDF16_DF16_NS_16tensor_operation12element_wise11PassThroughESA_SA_LNS8_6device18GemmSpecializationE0ELi256ELi128ELi128ELi128ELi16ELi16ELi16ELi16ELi4ELi2ENS_8SequenceIJLi8ELi32ELi1EEEENSD_IJLi1ELi0ELi2EEEESF_Li2ELi16ELi16ELb0ELi0ENSD_IJLi4ELi64ELi1EEEESF_SF_Li2ELi16ELi16ELb0ELi0ELi1ELi1ENSD_IJLi1ELi32ELi1ELi8EEEELi4ELNS_26BlockGemmPipelineSchedulerE1ELNS_24BlockGemmPipelineVersionE1ES6_S6_Lb0ELb1ELb0ELi0ELb0EEELb1ELNS_25InMemoryDataOperationEnumE1ELi2ELNS_10TailNumberE2EEEvNT_8ArgumentE.private_seg_size, 0
	.set _ZN2ck27kernel_gemm_xdl_cshuffle_v3INS_28GridwiseGemm_xdl_cshuffle_v3INS_13tensor_layout4gemm8RowMajorENS3_11ColumnMajorES4_NS_9f8_fnuz_tENS_7pk_i4_tEfDF16_DF16_NS_16tensor_operation12element_wise11PassThroughESA_SA_LNS8_6device18GemmSpecializationE0ELi256ELi128ELi128ELi128ELi16ELi16ELi16ELi16ELi4ELi2ENS_8SequenceIJLi8ELi32ELi1EEEENSD_IJLi1ELi0ELi2EEEESF_Li2ELi16ELi16ELb0ELi0ENSD_IJLi4ELi64ELi1EEEESF_SF_Li2ELi16ELi16ELb0ELi0ELi1ELi1ENSD_IJLi1ELi32ELi1ELi8EEEELi4ELNS_26BlockGemmPipelineSchedulerE1ELNS_24BlockGemmPipelineVersionE1ES6_S6_Lb0ELb1ELb0ELi0ELb0EEELb1ELNS_25InMemoryDataOperationEnumE1ELi2ELNS_10TailNumberE2EEEvNT_8ArgumentE.uses_vcc, 1
	.set _ZN2ck27kernel_gemm_xdl_cshuffle_v3INS_28GridwiseGemm_xdl_cshuffle_v3INS_13tensor_layout4gemm8RowMajorENS3_11ColumnMajorES4_NS_9f8_fnuz_tENS_7pk_i4_tEfDF16_DF16_NS_16tensor_operation12element_wise11PassThroughESA_SA_LNS8_6device18GemmSpecializationE0ELi256ELi128ELi128ELi128ELi16ELi16ELi16ELi16ELi4ELi2ENS_8SequenceIJLi8ELi32ELi1EEEENSD_IJLi1ELi0ELi2EEEESF_Li2ELi16ELi16ELb0ELi0ENSD_IJLi4ELi64ELi1EEEESF_SF_Li2ELi16ELi16ELb0ELi0ELi1ELi1ENSD_IJLi1ELi32ELi1ELi8EEEELi4ELNS_26BlockGemmPipelineSchedulerE1ELNS_24BlockGemmPipelineVersionE1ES6_S6_Lb0ELb1ELb0ELi0ELb0EEELb1ELNS_25InMemoryDataOperationEnumE1ELi2ELNS_10TailNumberE2EEEvNT_8ArgumentE.uses_flat_scratch, 0
	.set _ZN2ck27kernel_gemm_xdl_cshuffle_v3INS_28GridwiseGemm_xdl_cshuffle_v3INS_13tensor_layout4gemm8RowMajorENS3_11ColumnMajorES4_NS_9f8_fnuz_tENS_7pk_i4_tEfDF16_DF16_NS_16tensor_operation12element_wise11PassThroughESA_SA_LNS8_6device18GemmSpecializationE0ELi256ELi128ELi128ELi128ELi16ELi16ELi16ELi16ELi4ELi2ENS_8SequenceIJLi8ELi32ELi1EEEENSD_IJLi1ELi0ELi2EEEESF_Li2ELi16ELi16ELb0ELi0ENSD_IJLi4ELi64ELi1EEEESF_SF_Li2ELi16ELi16ELb0ELi0ELi1ELi1ENSD_IJLi1ELi32ELi1ELi8EEEELi4ELNS_26BlockGemmPipelineSchedulerE1ELNS_24BlockGemmPipelineVersionE1ES6_S6_Lb0ELb1ELb0ELi0ELb0EEELb1ELNS_25InMemoryDataOperationEnumE1ELi2ELNS_10TailNumberE2EEEvNT_8ArgumentE.has_dyn_sized_stack, 0
	.set _ZN2ck27kernel_gemm_xdl_cshuffle_v3INS_28GridwiseGemm_xdl_cshuffle_v3INS_13tensor_layout4gemm8RowMajorENS3_11ColumnMajorES4_NS_9f8_fnuz_tENS_7pk_i4_tEfDF16_DF16_NS_16tensor_operation12element_wise11PassThroughESA_SA_LNS8_6device18GemmSpecializationE0ELi256ELi128ELi128ELi128ELi16ELi16ELi16ELi16ELi4ELi2ENS_8SequenceIJLi8ELi32ELi1EEEENSD_IJLi1ELi0ELi2EEEESF_Li2ELi16ELi16ELb0ELi0ENSD_IJLi4ELi64ELi1EEEESF_SF_Li2ELi16ELi16ELb0ELi0ELi1ELi1ENSD_IJLi1ELi32ELi1ELi8EEEELi4ELNS_26BlockGemmPipelineSchedulerE1ELNS_24BlockGemmPipelineVersionE1ES6_S6_Lb0ELb1ELb0ELi0ELb0EEELb1ELNS_25InMemoryDataOperationEnumE1ELi2ELNS_10TailNumberE2EEEvNT_8ArgumentE.has_recursion, 0
	.set _ZN2ck27kernel_gemm_xdl_cshuffle_v3INS_28GridwiseGemm_xdl_cshuffle_v3INS_13tensor_layout4gemm8RowMajorENS3_11ColumnMajorES4_NS_9f8_fnuz_tENS_7pk_i4_tEfDF16_DF16_NS_16tensor_operation12element_wise11PassThroughESA_SA_LNS8_6device18GemmSpecializationE0ELi256ELi128ELi128ELi128ELi16ELi16ELi16ELi16ELi4ELi2ENS_8SequenceIJLi8ELi32ELi1EEEENSD_IJLi1ELi0ELi2EEEESF_Li2ELi16ELi16ELb0ELi0ENSD_IJLi4ELi64ELi1EEEESF_SF_Li2ELi16ELi16ELb0ELi0ELi1ELi1ENSD_IJLi1ELi32ELi1ELi8EEEELi4ELNS_26BlockGemmPipelineSchedulerE1ELNS_24BlockGemmPipelineVersionE1ES6_S6_Lb0ELb1ELb0ELi0ELb0EEELb1ELNS_25InMemoryDataOperationEnumE1ELi2ELNS_10TailNumberE2EEEvNT_8ArgumentE.has_indirect_call, 0
	.section	.AMDGPU.csdata,"",@progbits
; Kernel info:
; codeLenInByte = 11556
; TotalNumSgprs: 34
; NumVgprs: 232
; ScratchSize: 0
; MemoryBound: 0
; FloatMode: 240
; IeeeMode: 1
; LDSByteSize: 24576 bytes/workgroup (compile time only)
; SGPRBlocks: 0
; VGPRBlocks: 28
; NumSGPRsForWavesPerEU: 34
; NumVGPRsForWavesPerEU: 232
; Occupancy: 6
; WaveLimiterHint : 0
; COMPUTE_PGM_RSRC2:SCRATCH_EN: 0
; COMPUTE_PGM_RSRC2:USER_SGPR: 2
; COMPUTE_PGM_RSRC2:TRAP_HANDLER: 0
; COMPUTE_PGM_RSRC2:TGID_X_EN: 1
; COMPUTE_PGM_RSRC2:TGID_Y_EN: 0
; COMPUTE_PGM_RSRC2:TGID_Z_EN: 1
; COMPUTE_PGM_RSRC2:TIDIG_COMP_CNT: 0
	.section	.text._ZN2ck27kernel_gemm_xdl_cshuffle_v3INS_28GridwiseGemm_xdl_cshuffle_v3INS_13tensor_layout4gemm8RowMajorENS3_11ColumnMajorES4_NS_9f8_fnuz_tENS_7pk_i4_tEfDF16_DF16_NS_16tensor_operation12element_wise11PassThroughESA_SA_LNS8_6device18GemmSpecializationE0ELi256ELi128ELi128ELi128ELi16ELi16ELi16ELi16ELi4ELi2ENS_8SequenceIJLi8ELi32ELi1EEEENSD_IJLi1ELi0ELi2EEEESF_Li2ELi16ELi16ELb0ELi0ENSD_IJLi4ELi64ELi1EEEESF_SF_Li2ELi16ELi16ELb0ELi0ELi1ELi1ENSD_IJLi1ELi32ELi1ELi8EEEELi4ELNS_26BlockGemmPipelineSchedulerE1ELNS_24BlockGemmPipelineVersionE1ES6_S6_Lb0ELb1ELb0ELi0ELb0EEELb1ELNS_25InMemoryDataOperationEnumE1ELi2ELNS_10TailNumberE10EEEvNT_8ArgumentE,"axG",@progbits,_ZN2ck27kernel_gemm_xdl_cshuffle_v3INS_28GridwiseGemm_xdl_cshuffle_v3INS_13tensor_layout4gemm8RowMajorENS3_11ColumnMajorES4_NS_9f8_fnuz_tENS_7pk_i4_tEfDF16_DF16_NS_16tensor_operation12element_wise11PassThroughESA_SA_LNS8_6device18GemmSpecializationE0ELi256ELi128ELi128ELi128ELi16ELi16ELi16ELi16ELi4ELi2ENS_8SequenceIJLi8ELi32ELi1EEEENSD_IJLi1ELi0ELi2EEEESF_Li2ELi16ELi16ELb0ELi0ENSD_IJLi4ELi64ELi1EEEESF_SF_Li2ELi16ELi16ELb0ELi0ELi1ELi1ENSD_IJLi1ELi32ELi1ELi8EEEELi4ELNS_26BlockGemmPipelineSchedulerE1ELNS_24BlockGemmPipelineVersionE1ES6_S6_Lb0ELb1ELb0ELi0ELb0EEELb1ELNS_25InMemoryDataOperationEnumE1ELi2ELNS_10TailNumberE10EEEvNT_8ArgumentE,comdat
	.protected	_ZN2ck27kernel_gemm_xdl_cshuffle_v3INS_28GridwiseGemm_xdl_cshuffle_v3INS_13tensor_layout4gemm8RowMajorENS3_11ColumnMajorES4_NS_9f8_fnuz_tENS_7pk_i4_tEfDF16_DF16_NS_16tensor_operation12element_wise11PassThroughESA_SA_LNS8_6device18GemmSpecializationE0ELi256ELi128ELi128ELi128ELi16ELi16ELi16ELi16ELi4ELi2ENS_8SequenceIJLi8ELi32ELi1EEEENSD_IJLi1ELi0ELi2EEEESF_Li2ELi16ELi16ELb0ELi0ENSD_IJLi4ELi64ELi1EEEESF_SF_Li2ELi16ELi16ELb0ELi0ELi1ELi1ENSD_IJLi1ELi32ELi1ELi8EEEELi4ELNS_26BlockGemmPipelineSchedulerE1ELNS_24BlockGemmPipelineVersionE1ES6_S6_Lb0ELb1ELb0ELi0ELb0EEELb1ELNS_25InMemoryDataOperationEnumE1ELi2ELNS_10TailNumberE10EEEvNT_8ArgumentE ; -- Begin function _ZN2ck27kernel_gemm_xdl_cshuffle_v3INS_28GridwiseGemm_xdl_cshuffle_v3INS_13tensor_layout4gemm8RowMajorENS3_11ColumnMajorES4_NS_9f8_fnuz_tENS_7pk_i4_tEfDF16_DF16_NS_16tensor_operation12element_wise11PassThroughESA_SA_LNS8_6device18GemmSpecializationE0ELi256ELi128ELi128ELi128ELi16ELi16ELi16ELi16ELi4ELi2ENS_8SequenceIJLi8ELi32ELi1EEEENSD_IJLi1ELi0ELi2EEEESF_Li2ELi16ELi16ELb0ELi0ENSD_IJLi4ELi64ELi1EEEESF_SF_Li2ELi16ELi16ELb0ELi0ELi1ELi1ENSD_IJLi1ELi32ELi1ELi8EEEELi4ELNS_26BlockGemmPipelineSchedulerE1ELNS_24BlockGemmPipelineVersionE1ES6_S6_Lb0ELb1ELb0ELi0ELb0EEELb1ELNS_25InMemoryDataOperationEnumE1ELi2ELNS_10TailNumberE10EEEvNT_8ArgumentE
	.globl	_ZN2ck27kernel_gemm_xdl_cshuffle_v3INS_28GridwiseGemm_xdl_cshuffle_v3INS_13tensor_layout4gemm8RowMajorENS3_11ColumnMajorES4_NS_9f8_fnuz_tENS_7pk_i4_tEfDF16_DF16_NS_16tensor_operation12element_wise11PassThroughESA_SA_LNS8_6device18GemmSpecializationE0ELi256ELi128ELi128ELi128ELi16ELi16ELi16ELi16ELi4ELi2ENS_8SequenceIJLi8ELi32ELi1EEEENSD_IJLi1ELi0ELi2EEEESF_Li2ELi16ELi16ELb0ELi0ENSD_IJLi4ELi64ELi1EEEESF_SF_Li2ELi16ELi16ELb0ELi0ELi1ELi1ENSD_IJLi1ELi32ELi1ELi8EEEELi4ELNS_26BlockGemmPipelineSchedulerE1ELNS_24BlockGemmPipelineVersionE1ES6_S6_Lb0ELb1ELb0ELi0ELb0EEELb1ELNS_25InMemoryDataOperationEnumE1ELi2ELNS_10TailNumberE10EEEvNT_8ArgumentE
	.p2align	8
	.type	_ZN2ck27kernel_gemm_xdl_cshuffle_v3INS_28GridwiseGemm_xdl_cshuffle_v3INS_13tensor_layout4gemm8RowMajorENS3_11ColumnMajorES4_NS_9f8_fnuz_tENS_7pk_i4_tEfDF16_DF16_NS_16tensor_operation12element_wise11PassThroughESA_SA_LNS8_6device18GemmSpecializationE0ELi256ELi128ELi128ELi128ELi16ELi16ELi16ELi16ELi4ELi2ENS_8SequenceIJLi8ELi32ELi1EEEENSD_IJLi1ELi0ELi2EEEESF_Li2ELi16ELi16ELb0ELi0ENSD_IJLi4ELi64ELi1EEEESF_SF_Li2ELi16ELi16ELb0ELi0ELi1ELi1ENSD_IJLi1ELi32ELi1ELi8EEEELi4ELNS_26BlockGemmPipelineSchedulerE1ELNS_24BlockGemmPipelineVersionE1ES6_S6_Lb0ELb1ELb0ELi0ELb0EEELb1ELNS_25InMemoryDataOperationEnumE1ELi2ELNS_10TailNumberE10EEEvNT_8ArgumentE,@function
_ZN2ck27kernel_gemm_xdl_cshuffle_v3INS_28GridwiseGemm_xdl_cshuffle_v3INS_13tensor_layout4gemm8RowMajorENS3_11ColumnMajorES4_NS_9f8_fnuz_tENS_7pk_i4_tEfDF16_DF16_NS_16tensor_operation12element_wise11PassThroughESA_SA_LNS8_6device18GemmSpecializationE0ELi256ELi128ELi128ELi128ELi16ELi16ELi16ELi16ELi4ELi2ENS_8SequenceIJLi8ELi32ELi1EEEENSD_IJLi1ELi0ELi2EEEESF_Li2ELi16ELi16ELb0ELi0ENSD_IJLi4ELi64ELi1EEEESF_SF_Li2ELi16ELi16ELb0ELi0ELi1ELi1ENSD_IJLi1ELi32ELi1ELi8EEEELi4ELNS_26BlockGemmPipelineSchedulerE1ELNS_24BlockGemmPipelineVersionE1ES6_S6_Lb0ELb1ELb0ELi0ELb0EEELb1ELNS_25InMemoryDataOperationEnumE1ELi2ELNS_10TailNumberE10EEEvNT_8ArgumentE: ; @_ZN2ck27kernel_gemm_xdl_cshuffle_v3INS_28GridwiseGemm_xdl_cshuffle_v3INS_13tensor_layout4gemm8RowMajorENS3_11ColumnMajorES4_NS_9f8_fnuz_tENS_7pk_i4_tEfDF16_DF16_NS_16tensor_operation12element_wise11PassThroughESA_SA_LNS8_6device18GemmSpecializationE0ELi256ELi128ELi128ELi128ELi16ELi16ELi16ELi16ELi4ELi2ENS_8SequenceIJLi8ELi32ELi1EEEENSD_IJLi1ELi0ELi2EEEESF_Li2ELi16ELi16ELb0ELi0ENSD_IJLi4ELi64ELi1EEEESF_SF_Li2ELi16ELi16ELb0ELi0ELi1ELi1ENSD_IJLi1ELi32ELi1ELi8EEEELi4ELNS_26BlockGemmPipelineSchedulerE1ELNS_24BlockGemmPipelineVersionE1ES6_S6_Lb0ELb1ELb0ELi0ELb0EEELb1ELNS_25InMemoryDataOperationEnumE1ELi2ELNS_10TailNumberE10EEEvNT_8ArgumentE
; %bb.0:
	s_clause 0x4
	s_load_b96 s[16:18], s[0:1], 0x20
	s_load_b96 s[20:22], s[0:1], 0x60
	s_load_b128 s[4:7], s[0:1], 0x10
	s_load_b32 s26, s[0:1], 0x3c
	s_load_b128 s[12:15], s[0:1], 0x50
	s_lshr_b32 s2, ttmp7, 16
	s_mov_b32 s3, ttmp9
	s_mov_b64 s[24:25], 0
	s_wait_kmcnt 0x0
	s_cmp_gt_i32 s18, 1
	s_cselect_b32 s8, -1, 0
	s_bitcmp1_b32 s22, 0
	s_cselect_b32 s9, -1, 0
	s_delay_alu instid0(SALU_CYCLE_1) | instskip(NEXT) | instid1(SALU_CYCLE_1)
	s_and_b32 s8, s8, s9
	s_and_not1_b32 vcc_lo, exec_lo, s8
	s_cbranch_vccnz .LBB6_2
; %bb.1:
	s_mul_i32 s8, s4, s2
	s_delay_alu instid0(SALU_CYCLE_1) | instskip(NEXT) | instid1(SALU_CYCLE_1)
	s_mul_i32 s24, s8, s5
	s_ashr_i32 s25, s24, 31
.LBB6_2:
	s_load_b32 s1, s[0:1], 0x34
	s_add_co_i32 s23, s4, -1
	s_mov_b32 s22, 0
	s_cmp_lt_u32 s23, 0x80
	s_cbranch_scc1 .LBB6_6
; %bb.3:
	s_add_co_i32 s0, s5, -1
	s_delay_alu instid0(SALU_CYCLE_1)
	s_cmp_lt_u32 s0, 0x80
	s_mov_b32 s0, 0
	s_cbranch_scc1 .LBB6_10
; %bb.4:
	s_add_co_i32 s0, s4, 0x7f
	s_add_co_i32 s8, s5, 0x7f
	s_ashr_i32 s9, s0, 31
	s_ashr_i32 s10, s8, 31
	s_lshr_b32 s9, s9, 25
	s_lshr_b32 s10, s10, 25
	s_add_co_i32 s0, s0, s9
	s_add_co_i32 s9, s8, s10
	s_ashr_i32 s8, s0, 7
	s_ashr_i32 s0, s9, 7
	;; [unrolled: 1-line block ×3, first 2 shown]
	s_mul_i32 s9, s0, s8
	s_delay_alu instid0(SALU_CYCLE_1) | instskip(NEXT) | instid1(SALU_CYCLE_1)
	s_add_co_i32 s10, s9, 7
	s_ashr_i32 s11, s10, 31
	s_delay_alu instid0(SALU_CYCLE_1) | instskip(NEXT) | instid1(SALU_CYCLE_1)
	s_lshr_b32 s11, s11, 29
	s_add_co_i32 s11, s10, s11
	s_lshr_b32 s10, s19, 29
	s_and_b32 s27, s11, -8
	s_add_co_i32 s19, s3, s10
	s_sub_co_i32 s9, s9, s27
	s_and_b32 s10, s19, -8
	s_add_co_i32 s9, s9, 8
	s_sub_co_i32 s10, s3, s10
	s_ashr_i32 s11, s11, 3
	s_cmp_gt_i32 s10, s9
	s_cbranch_scc1 .LBB6_7
; %bb.5:
	s_mul_i32 s3, s11, s10
	s_ashr_i32 s19, s19, 3
	s_cbranch_execz .LBB6_8
	s_branch .LBB6_9
.LBB6_6:
	s_mov_b32 s19, s22
	s_branch .LBB6_11
.LBB6_7:
                                        ; implicit-def: $sgpr3
	s_ashr_i32 s19, s19, 3
.LBB6_8:
	s_add_co_i32 s3, s11, -1
	s_delay_alu instid0(SALU_CYCLE_1) | instskip(NEXT) | instid1(SALU_CYCLE_1)
	s_mul_i32 s3, s3, s10
	s_add_co_i32 s3, s9, s3
.LBB6_9:
	s_abs_i32 s9, s0
	s_add_co_i32 s3, s3, s19
	s_cvt_f32_u32 s10, s9
	s_sub_co_i32 s11, 0, s9
	s_abs_i32 s19, s3
	s_delay_alu instid0(SALU_CYCLE_1) | instskip(NEXT) | instid1(TRANS32_DEP_1)
	v_rcp_iflag_f32_e32 v1, s10
	v_readfirstlane_b32 s10, v1
	s_mul_f32 s10, s10, 0x4f7ffffe
	s_wait_alu 0xfffe
	s_delay_alu instid0(SALU_CYCLE_2) | instskip(SKIP_1) | instid1(SALU_CYCLE_2)
	s_cvt_u32_f32 s10, s10
	s_wait_alu 0xfffe
	s_mul_i32 s11, s11, s10
	s_wait_alu 0xfffe
	s_mul_hi_u32 s11, s10, s11
	s_wait_alu 0xfffe
	s_add_co_i32 s10, s10, s11
	s_xor_b32 s11, s3, s0
	s_wait_alu 0xfffe
	s_mul_hi_u32 s10, s19, s10
	s_ashr_i32 s11, s11, 31
	s_wait_alu 0xfffe
	s_mul_i32 s27, s10, s9
	s_delay_alu instid0(SALU_CYCLE_1)
	s_sub_co_i32 s19, s19, s27
	s_add_co_i32 s27, s10, 1
	s_sub_co_i32 s28, s19, s9
	s_cmp_ge_u32 s19, s9
	s_cselect_b32 s10, s27, s10
	s_cselect_b32 s19, s28, s19
	s_wait_alu 0xfffe
	s_add_co_i32 s27, s10, 1
	s_cmp_ge_u32 s19, s9
	s_cselect_b32 s9, s27, s10
	s_lshr_b32 s10, s8, 30
	s_xor_b32 s9, s9, s11
	s_wait_alu 0xfffe
	s_add_co_i32 s10, s8, s10
	s_sub_co_i32 s9, s9, s11
	s_wait_alu 0xfffe
	s_and_b32 s10, s10, -4
	s_mul_i32 s11, s9, s0
	s_wait_alu 0xfffe
	s_sub_co_i32 s8, s8, s10
	s_sub_co_i32 s3, s3, s11
	s_cmp_ge_i32 s9, s10
	s_cselect_b32 s8, s8, 4
	s_ashr_i32 s19, s9, 31
	s_abs_i32 s10, s8
	s_lshr_b32 s19, s19, 30
	s_wait_alu 0xfffe
	s_cvt_f32_u32 s11, s10
	s_add_co_i32 s19, s9, s19
	s_sub_co_i32 s27, 0, s10
	s_and_b32 s19, s19, -4
	s_wait_alu 0xfffe
	v_rcp_iflag_f32_e32 v1, s11
	s_sub_co_i32 s19, s9, s19
	s_delay_alu instid0(SALU_CYCLE_1) | instskip(NEXT) | instid1(SALU_CYCLE_1)
	s_mul_i32 s0, s19, s0
	s_add_co_i32 s3, s0, s3
	s_delay_alu instid0(TRANS32_DEP_1) | instskip(SKIP_2) | instid1(SALU_CYCLE_2)
	v_readfirstlane_b32 s11, v1
	s_mul_f32 s11, s11, 0x4f7ffffe
	s_wait_alu 0xfffe
	s_cvt_u32_f32 s11, s11
	s_wait_alu 0xfffe
	s_delay_alu instid0(SALU_CYCLE_2) | instskip(NEXT) | instid1(SALU_CYCLE_1)
	s_mul_i32 s27, s27, s11
	s_mul_hi_u32 s0, s11, s27
	s_abs_i32 s27, s3
	s_add_co_i32 s11, s11, s0
	s_wait_alu 0xfffe
	s_mul_hi_u32 s0, s27, s11
	s_xor_b32 s11, s3, s8
	s_mul_i32 s28, s0, s10
	s_wait_alu 0xfffe
	s_ashr_i32 s11, s11, 31
	s_sub_co_i32 s27, s27, s28
	s_add_co_i32 s28, s0, 1
	s_sub_co_i32 s29, s27, s10
	s_cmp_ge_u32 s27, s10
	s_cselect_b32 s0, s28, s0
	s_cselect_b32 s27, s29, s27
	s_add_co_i32 s28, s0, 1
	s_cmp_ge_u32 s27, s10
	s_cselect_b32 s0, s28, s0
	s_wait_alu 0xfffe
	s_xor_b32 s0, s0, s11
	s_delay_alu instid0(SALU_CYCLE_1) | instskip(NEXT) | instid1(SALU_CYCLE_1)
	s_sub_co_i32 s0, s0, s11
	s_mul_i32 s8, s0, s8
	s_delay_alu instid0(SALU_CYCLE_1) | instskip(NEXT) | instid1(SALU_CYCLE_1)
	s_sub_co_i32 s3, s3, s8
	s_add_co_i32 s3, s3, s9
	s_delay_alu instid0(SALU_CYCLE_1)
	s_sub_co_i32 s3, s3, s19
.LBB6_10:
	s_delay_alu instid0(SALU_CYCLE_1)
	s_mov_b32 s19, s3
	s_mov_b32 s3, s0
.LBB6_11:
	v_dual_mov_b32 v194, 16 :: v_dual_lshlrev_b32 v1, 1, v0
	s_wait_kmcnt 0x0
	s_mul_i32 s0, s1, s2
	s_add_co_i32 s11, s18, -1
	v_lshrrev_b32_e32 v169, 1, v0
	v_and_b32_e32 v192, 6, v1
	s_mul_i32 s27, s0, s5
	s_wait_alu 0xfffe
	s_mul_i32 s29, s11, s1
	s_lshr_b32 s28, s27, 1
	s_sub_co_i32 s6, s6, s29
	v_or_b32_e32 v1, 1, v192
	s_cmp_lt_u32 s2, s11
	v_dual_mov_b32 v208, 2 :: v_dual_and_b32 v89, 0x7c, v169
	s_cselect_b32 s11, s1, s6
	s_lshl_b32 s6, s3, 7
	v_lshlrev_b32_e32 v3, 4, v192
	v_and_or_b32 v2, 0x7e, v169, s6
	v_sub_nc_u32_e32 v4, v1, v192
	v_lshl_or_b32 v91, s19, 7, v89
	v_and_b32_e32 v90, 7, v0
	s_ashr_i32 s2, s16, 31
	v_lshl_or_b32 v2, v2, 7, v3
	v_lshlrev_b32_e32 v3, 4, v4
	v_mul_lo_u32 v191, v91, s7
	v_lshlrev_b32_e32 v193, 4, v90
	s_lshr_b32 s2, s2, 25
	s_delay_alu instid0(VALU_DEP_3) | instskip(SKIP_3) | instid1(VALU_DEP_3)
	v_dual_mov_b32 v17, 0 :: v_dual_add_nc_u32 v4, v2, v3
	s_mov_b32 s8, s7
	s_mov_b32 s9, s22
	s_add_co_i32 s2, s16, s2
	v_add_nc_u32_e32 v5, v191, v193
	v_add_nc_u32_e32 v7, 0x80, v4
	s_mov_b32 s10, s22
	s_mul_u64 s[8:9], s[22:23], s[8:9]
	s_ashr_i32 s1, s0, 31
	s_mov_b32 s29, s22
	s_ashr_i32 s2, s2, 7
	v_ashrrev_i32_e32 v8, 1, v7
	s_mov_b32 s18, 0x31004000
	s_add_nc_u64 s[0:1], s[12:13], s[0:1]
	s_wait_alu 0xfffe
	s_add_nc_u64 s[12:13], s[10:11], s[8:9]
	v_dual_mov_b32 v25, 0 :: v_dual_add_nc_u32 v6, s7, v5
	s_add_nc_u64 s[8:9], s[14:15], s[28:29]
	s_mul_i32 s2, s5, s2
	v_sub_nc_u32_e32 v1, v192, v1
	s_mov_b32 s3, s18
	s_and_b32 s1, s1, 0xffff
	s_mov_b32 s11, s18
	s_and_b32 s9, s9, 0xffff
	s_lshl_b32 s10, s2, 6
	s_mov_b32 s2, s13
	buffer_load_b64 v[81:82], v8, s[8:11], null offen
	s_clause 0x1
	buffer_load_b128 v[49:52], v5, s[0:3], null offen
	buffer_load_b128 v[53:56], v6, s[0:3], null offen
	v_lshlrev_b32_e32 v1, 4, v1
	s_lshl_b32 s12, s5, 7
	v_add_nc_u32_e32 v9, s7, v6
	s_add_co_i32 s14, s12, 0xffffff80
	v_mov_b32_e32 v41, 0
	v_add_nc_u32_e32 v7, v7, v1
	s_mul_i32 s15, s7, -3
	v_add_nc_u32_e32 v5, s7, v9
	s_clause 0x1
	buffer_load_b128 v[57:60], v9, s[0:3], null offen
	buffer_load_b128 v[61:64], v5, s[0:3], null offen
	v_add_nc_u32_e32 v8, s14, v7
	v_add3_u32 v5, 0x80, s15, v5
	v_ashrrev_i32_e32 v2, 1, v2
	v_ashrrev_i32_e32 v7, 1, v7
	;; [unrolled: 1-line block ×3, first 2 shown]
	v_add_nc_u32_e32 v3, v8, v3
	v_mov_b32_e32 v33, 0
	s_clause 0x2
	buffer_load_b64 v[83:84], v2, s[8:11], null offen
	buffer_load_b64 v[85:86], v7, s[8:11], null offen
	;; [unrolled: 1-line block ×3, first 2 shown]
	v_ashrrev_i32_e32 v8, 1, v8
	v_lshrrev_b32_e32 v170, 3, v0
	v_add_nc_u32_e32 v6, 0x80, v3
	v_lshrrev_b32_e32 v2, 31, v3
	v_bfe_u32 v93, v0, 2, 4
	v_or_b32_e32 v98, 3, v169
	v_or_b32_e32 v113, 3, v91
	v_add_nc_u32_e32 v92, v6, v1
	v_add_nc_u32_e32 v1, s7, v5
	v_lshrrev_b32_e32 v4, 31, v6
	v_add_nc_u32_e32 v2, v3, v2
	s_clause 0x1
	buffer_load_b128 v[77:80], v5, s[0:3], null offen
	buffer_load_b128 v[73:76], v1, s[0:3], null offen
	v_lshrrev_b32_e32 v7, 31, v92
	v_add_nc_u32_e32 v9, s7, v1
	v_add_nc_u32_e32 v3, v6, v4
	v_ashrrev_i32_e32 v2, 1, v2
	v_xor_b32_e32 v98, v98, v0
	v_add_nc_u32_e32 v4, v92, v7
	v_add_nc_u32_e32 v1, s7, v9
	v_ashrrev_i32_e32 v3, 1, v3
	v_mul_lo_u32 v198, s7, v113
	v_and_b32_e32 v98, 7, v98
	v_ashrrev_i32_e32 v4, 1, v4
	s_clause 0x1
	buffer_load_b128 v[69:72], v9, s[0:3], null offen
	buffer_load_b128 v[65:68], v1, s[0:3], null offen
	s_clause 0x3
	buffer_load_b64 v[145:146], v8, s[8:11], null offen
	buffer_load_b64 v[147:148], v2, s[8:11], null offen
	;; [unrolled: 1-line block ×4, first 2 shown]
	v_dual_mov_b32 v2, 0 :: v_dual_lshlrev_b32 v5, 2, v0
	v_and_b32_e32 v4, 15, v0
	v_dual_mov_b32 v1, 0 :: v_dual_and_b32 v94, 4, v169
	s_delay_alu instid0(VALU_DEP_3) | instskip(NEXT) | instid1(VALU_DEP_4)
	v_mov_b32_e32 v28, v2
	v_dual_mov_b32 v11, v2 :: v_dual_and_b32 v96, 64, v5
	v_mov_b32_e32 v5, v2
	v_and_or_b32 v171, v170, 16, v4
	v_mov_b32_e32 v7, v2
	s_delay_alu instid0(VALU_DEP_4)
	v_lshrrev_b32_e32 v101, 4, v96
	v_or_b32_e32 v104, 1, v94
	v_mov_b32_e32 v9, 0
	v_dual_mov_b32 v45, v2 :: v_dual_lshlrev_b32 v100, 1, v192
	v_dual_mov_b32 v47, v2 :: v_dual_lshlrev_b32 v102, 7, v171
	v_xor_b32_e32 v99, v94, v90
	v_xor_b32_e32 v107, v101, v90
	;; [unrolled: 1-line block ×3, first 2 shown]
	v_lshrrev_b32_e32 v3, 2, v0
	v_and_or_b32 v97, v169, 48, v4
	v_lshrrev_b32_e32 v96, 3, v96
	v_or_b32_e32 v105, 2, v94
	v_or_b32_e32 v94, 3, v94
	v_xor_b32_e32 v106, v100, v93
	v_or_b32_e32 v108, 1, v100
	v_or_b32_e32 v109, 3, v100
	;; [unrolled: 1-line block ×6, first 2 shown]
	v_lshl_or_b32 v178, v107, 4, v102
	v_sub_nc_u32_e32 v102, v104, v99
	v_dual_mov_b32 v30, v2 :: v_dual_lshlrev_b32 v95, 8, v3
	v_mov_b32_e32 v39, v2
	v_lshlrev_b32_e32 v89, 7, v89
	v_lshrrev_b32_e32 v103, 1, v97
	v_bfe_u32 v97, v97, 1, 4
	v_and_or_b32 v96, v0, 1, v96
	v_xor_b32_e32 v105, v105, v90
	v_xor_b32_e32 v94, v94, v90
	;; [unrolled: 1-line block ×8, first 2 shown]
	v_sub_nc_u32_e32 v110, v110, v101
	v_sub_nc_u32_e32 v111, v111, v101
	;; [unrolled: 1-line block ×3, first 2 shown]
	v_lshlrev_b32_e32 v186, 4, v102
	v_lshl_or_b32 v89, v99, 4, v89
	v_lshl_or_b32 v207, v106, 4, v95
	v_xor_b32_e32 v95, v97, v96
	v_sub_nc_u32_e32 v112, v93, v106
	v_sub_nc_u32_e32 v100, v100, v107
	;; [unrolled: 1-line block ×4, first 2 shown]
	v_lshl_add_u32 v107, v110, 1, v96
	v_lshl_add_u32 v110, v111, 1, v96
	;; [unrolled: 1-line block ×3, first 2 shown]
	v_sub_nc_u32_e32 v101, v93, v109
	v_sub_nc_u32_e32 v93, v106, v93
	v_add_nc_u32_e32 v201, 0x80, v186
	v_mov_b32_e32 v35, v2
	v_lshlrev_b32_e32 v103, 8, v103
	v_or_b32_e32 v91, 2, v91
	v_sub_nc_u32_e32 v104, v105, v104
	v_lshlrev_b32_e32 v204, 4, v93
	v_add_nc_u32_e32 v93, v201, v89
	v_sub_nc_u32_e32 v114, v94, v105
	v_sub_nc_u32_e32 v105, v98, v105
	;; [unrolled: 1-line block ×3, first 2 shown]
	v_mul_lo_u32 v199, s7, v91
	v_lshlrev_b32_e32 v184, 4, v104
	v_sub_nc_u32_e32 v104, v109, v106
	v_xor_b32_e32 v96, v96, v97
	v_lshl_add_u32 v187, v98, 4, 0xfffffe80
	v_sub_nc_u32_e32 v98, v109, v108
	v_sub_nc_u32_e32 v94, v99, v94
	v_lshlrev_b32_e32 v99, 4, v114
	v_lshlrev_b32_e32 v185, 4, v105
	;; [unrolled: 1-line block ×8, first 2 shown]
	v_add_nc_u32_e32 v183, v100, v178
	v_add_nc_u32_e32 v181, v105, v178
	;; [unrolled: 1-line block ×3, first 2 shown]
	v_or3_b32 v195, 0, 0, 0
	v_add_nc_u32_e32 v209, s14, v92
	v_lshrrev_b32_e32 v102, 1, v207
	s_ashr_i32 s2, s26, 31
	v_mov_b32_e32 v3, v2
	s_lshr_b32 s2, s2, 29
	v_mov_b32_e32 v4, v2
	s_add_co_i32 s26, s26, s2
	v_mov_b32_e32 v6, v2
	v_mov_b32_e32 v8, v2
	;; [unrolled: 1-line block ×3, first 2 shown]
	v_dual_mov_b32 v12, v2 :: v_dual_mov_b32 v13, v2
	v_mov_b32_e32 v32, v2
	v_dual_mov_b32 v14, v2 :: v_dual_mov_b32 v15, v2
	v_mov_b32_e32 v42, v2
	v_mov_b32_e32 v16, v2
	v_dual_mov_b32 v18, v2 :: v_dual_mov_b32 v19, v2
	v_mov_b32_e32 v44, v2
	v_dual_mov_b32 v20, v2 :: v_dual_mov_b32 v21, v2
	;; [unrolled: 2-line block ×3, first 2 shown]
	v_mov_b32_e32 v48, v2
	v_mov_b32_e32 v24, v2
	v_dual_mov_b32 v26, v2 :: v_dual_mov_b32 v27, v2
	v_dual_mov_b32 v34, v2 :: v_dual_mov_b32 v29, v2
	;; [unrolled: 1-line block ×5, first 2 shown]
	v_add_nc_u32_e32 v200, s7, v191
	v_or_b32_e32 v196, 16, v192
	v_or_b32_e32 v197, 17, v192
	s_mov_b32 s2, s13
	s_ashr_i32 s13, s26, 3
	s_mov_b32 s7, s22
	s_add_co_i32 s13, s13, -2
	s_wait_loadcnt 0xe
	ds_store_b128 v89, v[49:52]
	s_wait_loadcnt 0xd
	ds_store_b128 v93, v[53:56]
	v_mov_b32_e32 v52, v2
	v_lshl_or_b32 v91, v95, 4, v103
	v_sub_nc_u32_e32 v103, v108, v106
	v_xor_b32_e32 v106, v107, v97
	v_xor_b32_e32 v107, v110, v97
	v_dual_mov_b32 v51, v2 :: v_dual_add_nc_u32 v202, 0x80, v184
	s_delay_alu instid0(VALU_DEP_4) | instskip(NEXT) | instid1(VALU_DEP_4)
	v_dual_mov_b32 v55, v2 :: v_dual_lshlrev_b32 v188, 4, v103
	v_sub_nc_u32_e32 v106, v106, v95
	s_delay_alu instid0(VALU_DEP_4) | instskip(NEXT) | instid1(VALU_DEP_4)
	v_sub_nc_u32_e32 v107, v107, v95
	v_add_nc_u32_e32 v98, v201, v202
	v_sub_nc_u32_e32 v95, v96, v95
	v_add_nc_u32_e32 v101, v188, v207
	v_or_b32_e32 v97, 0x2000, v91
	v_add_nc_u32_e32 v96, v202, v93
	v_lshlrev_b32_e32 v105, 4, v107
	v_lshlrev_b32_e32 v95, 4, v95
	v_ashrrev_i32_e32 v100, 1, v101
	v_dual_mov_b32 v54, v2 :: v_dual_lshlrev_b32 v101, 4, v106
	v_add3_u32 v90, v98, v89, v99
	v_lshrrev_b32_e32 v180, 1, v91
	v_dual_mov_b32 v53, v2 :: v_dual_and_b32 v92, 0xff, v82
	v_lshl_add_u32 v103, v104, 4, v207
	s_delay_alu instid0(VALU_DEP_4)
	v_add3_u32 v205, v90, v94, 0xffffff00
	v_add_nc_u32_e32 v90, v96, v99
	v_add_nc_u32_e32 v94, v101, v91
	;; [unrolled: 1-line block ×5, first 2 shown]
	v_lshrrev_b32_e32 v175, 1, v97
	v_ashrrev_i32_e32 v179, 1, v94
	v_and_b32_e32 v94, 0xff0000, v81
	v_ashrrev_i32_e32 v176, 1, v91
	v_ashrrev_i32_e32 v172, 1, v95
	v_and_b32_e32 v91, 0xffff0000, v82
	v_and_b32_e32 v82, 0xff00, v82
	;; [unrolled: 1-line block ×3, first 2 shown]
	v_add_nc_u32_e32 v101, v101, v97
	v_add_nc_u32_e32 v105, v105, v97
	v_and_b32_e32 v97, 0xff00, v81
	v_and_b32_e32 v81, 0xff, v81
	v_or3_b32 v82, v82, v91, v92
	v_or3_b32 v91, v195, v95, v94
	v_dual_mov_b32 v56, v2 :: v_dual_add_nc_u32 v203, 0x80, v185
	v_ashrrev_i32_e32 v103, 1, v103
	s_delay_alu instid0(VALU_DEP_4) | instskip(NEXT) | instid1(VALU_DEP_4)
	v_or3_b32 v50, v82, 0, 0
	v_or3_b32 v49, v91, v97, v81
	v_lshl_add_u32 v104, v112, 4, v207
	s_wait_loadcnt 0xc
	ds_store_b128 v96, v[57:60]
	s_wait_loadcnt 0xb
	ds_store_b128 v90, v[61:64] offset:128
	s_wait_loadcnt 0xa
	ds_store_b64 v102, v[83:84] offset:16384
	s_wait_loadcnt 0x9
	ds_store_b64 v100, v[85:86] offset:16384
	ds_store_b64 v103, v[49:50] offset:16384
	v_mov_b32_e32 v62, v2
	v_add3_u32 v98, v98, v203, v187
	v_ashrrev_i32_e32 v177, 1, v99
	v_ashrrev_i32_e32 v104, 1, v104
	;; [unrolled: 1-line block ×4, first 2 shown]
	v_dual_mov_b32 v49, 0 :: v_dual_add_nc_u32 v206, v98, v98
	v_dual_mov_b32 v50, v2 :: v_dual_mov_b32 v57, 0
	v_dual_mov_b32 v58, v2 :: v_dual_mov_b32 v59, v2
	;; [unrolled: 1-line block ×4, first 2 shown]
	s_wait_loadcnt 0x8
	ds_store_b64 v104, v[87:88] offset:16384
.LBB6_12:                               ; =>This Inner Loop Header: Depth=1
	s_wait_dscnt 0x0
	s_barrier_signal -1
	s_barrier_wait -1
	ds_load_b64 v[156:157], v180 offset:16384
	ds_load_b128 v[125:128], v183
	ds_load_b128 v[133:136], v178
	ds_load_b128 v[137:140], v178 offset:4096
	ds_load_b128 v[113:116], v183 offset:4096
	;; [unrolled: 1-line block ×9, first 2 shown]
	ds_load_b128 v[109:112], v181
	ds_load_b128 v[121:124], v183 offset:12288
	ds_load_b128 v[93:96], v182
	ds_load_b128 v[101:104], v181 offset:12288
	ds_load_b128 v[81:84], v182 offset:12288
	s_wait_dscnt 0x10
	;;#ASMSTART
	v_cvt_off_f32_i4 v154, v156
	;;#ASMEND
	v_ashrrev_i32_e32 v153, 16, v156
	;;#ASMSTART
	v_cvt_off_f32_i4 v155, v153
	;;#ASMEND
	v_mov_b32_e32 v153, 0
	v_ashrrev_i32_e32 v158, 24, v156
	v_ashrrev_i32_e32 v159, 24, v157
	s_delay_alu instid0(VALU_DEP_3) | instskip(SKIP_4) | instid1(VALU_DEP_1)
	v_cvt_pk_fp8_f32 v153, v154, v155
	v_ashrrev_i32_e32 v154, 8, v156
	;;#ASMSTART
	v_cvt_off_f32_i4 v155, v154
	;;#ASMEND
	v_mov_b32_e32 v154, 0
	;;#ASMSTART
	v_cvt_off_f32_i4 v158, v158
	;;#ASMEND
	v_cvt_pk_fp8_f32 v154, v155, v158
	v_ashrrev_i32_e32 v155, 4, v156
	;;#ASMSTART
	v_cvt_off_f32_i4 v155, v155
	;;#ASMEND
	v_ashrrev_i32_e32 v158, 20, v156
	;;#ASMSTART
	v_cvt_off_f32_i4 v158, v158
	;;#ASMEND
	s_delay_alu instid0(VALU_DEP_1) | instskip(SKIP_4) | instid1(VALU_DEP_1)
	v_cvt_pk_fp8_f32 v153, v155, v158 op_sel:[0,0,1]
	v_ashrrev_i32_e32 v155, 12, v156
	;;#ASMSTART
	v_cvt_off_f32_i4 v155, v155
	;;#ASMEND
	v_ashrrev_i32_e32 v156, 28, v156
	;;#ASMSTART
	v_cvt_off_f32_i4 v156, v156
	;;#ASMEND
	v_cvt_pk_fp8_f32 v154, v155, v156 op_sel:[0,0,1]
	v_ashrrev_i32_e32 v155, 16, v157
	;;#ASMSTART
	v_cvt_off_f32_i4 v156, v157
	;;#ASMEND
	;;#ASMSTART
	v_cvt_off_f32_i4 v158, v155
	;;#ASMEND
	v_mov_b32_e32 v155, 0
	s_delay_alu instid0(VALU_DEP_1) | instskip(SKIP_4) | instid1(VALU_DEP_1)
	v_cvt_pk_fp8_f32 v155, v156, v158
	v_ashrrev_i32_e32 v156, 8, v157
	;;#ASMSTART
	v_cvt_off_f32_i4 v158, v156
	;;#ASMEND
	v_mov_b32_e32 v156, 0
	;;#ASMSTART
	v_cvt_off_f32_i4 v159, v159
	;;#ASMEND
	v_cvt_pk_fp8_f32 v156, v158, v159
	v_ashrrev_i32_e32 v158, 4, v157
	;;#ASMSTART
	v_cvt_off_f32_i4 v158, v158
	;;#ASMEND
	v_ashrrev_i32_e32 v159, 20, v157
	;;#ASMSTART
	v_cvt_off_f32_i4 v159, v159
	;;#ASMEND
	s_delay_alu instid0(VALU_DEP_1)
	v_cvt_pk_fp8_f32 v155, v158, v159 op_sel:[0,0,1]
	v_ashrrev_i32_e32 v158, 12, v157
	v_ashrrev_i32_e32 v157, 28, v157
	;;#ASMSTART
	v_cvt_off_f32_i4 v158, v158
	;;#ASMEND
	;;#ASMSTART
	v_cvt_off_f32_i4 v157, v157
	;;#ASMEND
	ds_load_b64 v[159:160], v179 offset:16384
	v_cvt_pk_fp8_f32 v156, v158, v157 op_sel:[0,0,1]
	s_wait_dscnt 0x0
	;;#ASMSTART
	v_cvt_off_f32_i4 v158, v159
	;;#ASMEND
	v_ashrrev_i32_e32 v157, 16, v159
	;;#ASMSTART
	v_cvt_off_f32_i4 v161, v157
	;;#ASMEND
	v_mov_b32_e32 v157, 0
	v_ashrrev_i32_e32 v162, 24, v159
	v_ashrrev_i32_e32 v163, 24, v160
	s_delay_alu instid0(VALU_DEP_3) | instskip(SKIP_4) | instid1(VALU_DEP_1)
	v_cvt_pk_fp8_f32 v157, v158, v161
	v_ashrrev_i32_e32 v158, 8, v159
	;;#ASMSTART
	v_cvt_off_f32_i4 v161, v158
	;;#ASMEND
	v_mov_b32_e32 v158, 0
	;;#ASMSTART
	v_cvt_off_f32_i4 v162, v162
	;;#ASMEND
	v_cvt_pk_fp8_f32 v158, v161, v162
	v_ashrrev_i32_e32 v161, 4, v159
	;;#ASMSTART
	v_cvt_off_f32_i4 v161, v161
	;;#ASMEND
	v_ashrrev_i32_e32 v162, 20, v159
	;;#ASMSTART
	v_cvt_off_f32_i4 v162, v162
	;;#ASMEND
	s_delay_alu instid0(VALU_DEP_1) | instskip(SKIP_4) | instid1(VALU_DEP_1)
	v_cvt_pk_fp8_f32 v157, v161, v162 op_sel:[0,0,1]
	v_ashrrev_i32_e32 v161, 12, v159
	;;#ASMSTART
	v_cvt_off_f32_i4 v161, v161
	;;#ASMEND
	v_ashrrev_i32_e32 v159, 28, v159
	;;#ASMSTART
	v_cvt_off_f32_i4 v159, v159
	;;#ASMEND
	v_cvt_pk_fp8_f32 v158, v161, v159 op_sel:[0,0,1]
	v_mov_b32_e32 v161, 0
	v_ashrrev_i32_e32 v159, 16, v160
	;;#ASMSTART
	v_cvt_off_f32_i4 v162, v160
	;;#ASMEND
	;;#ASMSTART
	v_cvt_off_f32_i4 v159, v159
	;;#ASMEND
	s_delay_alu instid0(VALU_DEP_1) | instskip(SKIP_4) | instid1(VALU_DEP_1)
	v_cvt_pk_fp8_f32 v161, v162, v159
	v_mov_b32_e32 v162, 0
	v_ashrrev_i32_e32 v159, 8, v160
	;;#ASMSTART
	v_cvt_off_f32_i4 v159, v159
	;;#ASMEND
	;;#ASMSTART
	v_cvt_off_f32_i4 v163, v163
	;;#ASMEND
	v_cvt_pk_fp8_f32 v162, v159, v163
	v_ashrrev_i32_e32 v159, 4, v160
	;;#ASMSTART
	v_cvt_off_f32_i4 v159, v159
	;;#ASMEND
	v_ashrrev_i32_e32 v163, 20, v160
	;;#ASMSTART
	v_cvt_off_f32_i4 v163, v163
	;;#ASMEND
	s_delay_alu instid0(VALU_DEP_1)
	v_cvt_pk_fp8_f32 v161, v159, v163 op_sel:[0,0,1]
	v_ashrrev_i32_e32 v159, 12, v160
	v_ashrrev_i32_e32 v160, 28, v160
	;;#ASMSTART
	v_cvt_off_f32_i4 v159, v159
	;;#ASMEND
	;;#ASMSTART
	v_cvt_off_f32_i4 v160, v160
	;;#ASMEND
	ds_load_b64 v[164:165], v177 offset:16384
	v_cvt_pk_fp8_f32 v162, v159, v160 op_sel:[0,0,1]
	s_wait_dscnt 0x0
	;;#ASMSTART
	v_cvt_off_f32_i4 v160, v164
	;;#ASMEND
	v_ashrrev_i32_e32 v159, 16, v164
	;;#ASMSTART
	v_cvt_off_f32_i4 v163, v159
	;;#ASMEND
	v_mov_b32_e32 v159, 0
	v_ashrrev_i32_e32 v166, 24, v164
	v_ashrrev_i32_e32 v167, 24, v165
	s_delay_alu instid0(VALU_DEP_3) | instskip(SKIP_4) | instid1(VALU_DEP_1)
	v_cvt_pk_fp8_f32 v159, v160, v163
	v_ashrrev_i32_e32 v160, 8, v164
	;;#ASMSTART
	v_cvt_off_f32_i4 v163, v160
	;;#ASMEND
	v_mov_b32_e32 v160, 0
	;;#ASMSTART
	v_cvt_off_f32_i4 v166, v166
	;;#ASMEND
	v_cvt_pk_fp8_f32 v160, v163, v166
	v_ashrrev_i32_e32 v163, 4, v164
	;;#ASMSTART
	v_cvt_off_f32_i4 v163, v163
	;;#ASMEND
	v_ashrrev_i32_e32 v166, 20, v164
	;;#ASMSTART
	v_cvt_off_f32_i4 v166, v166
	;;#ASMEND
	s_delay_alu instid0(VALU_DEP_1) | instskip(SKIP_4) | instid1(VALU_DEP_1)
	v_cvt_pk_fp8_f32 v159, v163, v166 op_sel:[0,0,1]
	v_ashrrev_i32_e32 v163, 12, v164
	;;#ASMSTART
	v_cvt_off_f32_i4 v163, v163
	;;#ASMEND
	v_ashrrev_i32_e32 v164, 28, v164
	;;#ASMSTART
	v_cvt_off_f32_i4 v164, v164
	;;#ASMEND
	v_cvt_pk_fp8_f32 v160, v163, v164 op_sel:[0,0,1]
	v_ashrrev_i32_e32 v163, 16, v165
	;;#ASMSTART
	v_cvt_off_f32_i4 v164, v165
	;;#ASMEND
	;;#ASMSTART
	v_cvt_off_f32_i4 v166, v163
	;;#ASMEND
	v_mov_b32_e32 v163, 0
	s_delay_alu instid0(VALU_DEP_1) | instskip(SKIP_4) | instid1(VALU_DEP_1)
	v_cvt_pk_fp8_f32 v163, v164, v166
	v_ashrrev_i32_e32 v164, 8, v165
	;;#ASMSTART
	v_cvt_off_f32_i4 v166, v164
	;;#ASMEND
	v_mov_b32_e32 v164, 0
	;;#ASMSTART
	v_cvt_off_f32_i4 v167, v167
	;;#ASMEND
	v_cvt_pk_fp8_f32 v164, v166, v167
	v_ashrrev_i32_e32 v166, 4, v165
	;;#ASMSTART
	v_cvt_off_f32_i4 v166, v166
	;;#ASMEND
	v_ashrrev_i32_e32 v167, 20, v165
	;;#ASMSTART
	v_cvt_off_f32_i4 v167, v167
	;;#ASMEND
	s_delay_alu instid0(VALU_DEP_1)
	v_cvt_pk_fp8_f32 v163, v166, v167 op_sel:[0,0,1]
	v_ashrrev_i32_e32 v166, 12, v165
	v_ashrrev_i32_e32 v165, 28, v165
	;;#ASMSTART
	v_cvt_off_f32_i4 v166, v166
	;;#ASMEND
	;;#ASMSTART
	v_cvt_off_f32_i4 v165, v165
	;;#ASMEND
	ds_load_b64 v[210:211], v176 offset:16384
	v_cvt_pk_fp8_f32 v164, v166, v165 op_sel:[0,0,1]
	s_wait_dscnt 0x0
	;;#ASMSTART
	v_cvt_off_f32_i4 v166, v210
	;;#ASMEND
	v_ashrrev_i32_e32 v165, 16, v210
	;;#ASMSTART
	v_cvt_off_f32_i4 v167, v165
	;;#ASMEND
	v_mov_b32_e32 v165, 0
	v_ashrrev_i32_e32 v168, 24, v210
	v_ashrrev_i32_e32 v212, 24, v211
	s_delay_alu instid0(VALU_DEP_3) | instskip(SKIP_4) | instid1(VALU_DEP_1)
	v_cvt_pk_fp8_f32 v165, v166, v167
	v_ashrrev_i32_e32 v166, 8, v210
	;;#ASMSTART
	v_cvt_off_f32_i4 v167, v166
	;;#ASMEND
	v_mov_b32_e32 v166, 0
	;;#ASMSTART
	v_cvt_off_f32_i4 v168, v168
	;;#ASMEND
	v_cvt_pk_fp8_f32 v166, v167, v168
	v_ashrrev_i32_e32 v167, 4, v210
	;;#ASMSTART
	v_cvt_off_f32_i4 v167, v167
	;;#ASMEND
	v_ashrrev_i32_e32 v168, 20, v210
	;;#ASMSTART
	v_cvt_off_f32_i4 v168, v168
	;;#ASMEND
	s_delay_alu instid0(VALU_DEP_1) | instskip(SKIP_4) | instid1(VALU_DEP_1)
	v_cvt_pk_fp8_f32 v165, v167, v168 op_sel:[0,0,1]
	v_ashrrev_i32_e32 v167, 12, v210
	;;#ASMSTART
	v_cvt_off_f32_i4 v167, v167
	;;#ASMEND
	v_ashrrev_i32_e32 v168, 28, v210
	;;#ASMSTART
	v_cvt_off_f32_i4 v168, v168
	;;#ASMEND
	v_cvt_pk_fp8_f32 v166, v167, v168 op_sel:[0,0,1]
	v_ashrrev_i32_e32 v167, 16, v211
	;;#ASMSTART
	v_cvt_off_f32_i4 v168, v211
	;;#ASMEND
	;;#ASMSTART
	v_cvt_off_f32_i4 v210, v167
	;;#ASMEND
	v_mov_b32_e32 v167, 0
	s_delay_alu instid0(VALU_DEP_1) | instskip(SKIP_4) | instid1(VALU_DEP_1)
	v_cvt_pk_fp8_f32 v167, v168, v210
	v_ashrrev_i32_e32 v168, 8, v211
	;;#ASMSTART
	v_cvt_off_f32_i4 v210, v168
	;;#ASMEND
	v_mov_b32_e32 v168, 0
	;;#ASMSTART
	v_cvt_off_f32_i4 v212, v212
	;;#ASMEND
	v_cvt_pk_fp8_f32 v168, v210, v212
	v_ashrrev_i32_e32 v210, 4, v211
	;;#ASMSTART
	v_cvt_off_f32_i4 v210, v210
	;;#ASMEND
	v_ashrrev_i32_e32 v212, 20, v211
	;;#ASMSTART
	v_cvt_off_f32_i4 v212, v212
	;;#ASMEND
	s_delay_alu instid0(VALU_DEP_1) | instskip(SKIP_4) | instid1(VALU_DEP_1)
	v_cvt_pk_fp8_f32 v167, v210, v212 op_sel:[0,0,1]
	v_ashrrev_i32_e32 v210, 12, v211
	v_ashrrev_i32_e32 v211, 28, v211
	;;#ASMSTART
	v_cvt_off_f32_i4 v210, v210
	;;#ASMEND
	;;#ASMSTART
	v_cvt_off_f32_i4 v211, v211
	;;#ASMEND
	v_cvt_pk_fp8_f32 v168, v210, v211 op_sel:[0,0,1]
	ds_load_b64 v[210:211], v175 offset:16384
	s_wait_dscnt 0x0
	;;#ASMSTART
	v_cvt_off_f32_i4 v213, v210
	;;#ASMEND
	v_ashrrev_i32_e32 v212, 16, v210
	;;#ASMSTART
	v_cvt_off_f32_i4 v214, v212
	;;#ASMEND
	v_mov_b32_e32 v212, 0
	v_ashrrev_i32_e32 v215, 24, v210
	v_ashrrev_i32_e32 v216, 24, v211
	s_delay_alu instid0(VALU_DEP_3) | instskip(SKIP_4) | instid1(VALU_DEP_1)
	v_cvt_pk_fp8_f32 v212, v213, v214
	v_ashrrev_i32_e32 v213, 8, v210
	;;#ASMSTART
	v_cvt_off_f32_i4 v214, v213
	;;#ASMEND
	v_mov_b32_e32 v213, 0
	;;#ASMSTART
	v_cvt_off_f32_i4 v215, v215
	;;#ASMEND
	v_cvt_pk_fp8_f32 v213, v214, v215
	v_ashrrev_i32_e32 v214, 4, v210
	;;#ASMSTART
	v_cvt_off_f32_i4 v214, v214
	;;#ASMEND
	v_ashrrev_i32_e32 v215, 20, v210
	;;#ASMSTART
	v_cvt_off_f32_i4 v215, v215
	;;#ASMEND
	s_delay_alu instid0(VALU_DEP_1) | instskip(SKIP_4) | instid1(VALU_DEP_1)
	v_cvt_pk_fp8_f32 v212, v214, v215 op_sel:[0,0,1]
	v_ashrrev_i32_e32 v214, 12, v210
	;;#ASMSTART
	v_cvt_off_f32_i4 v214, v214
	;;#ASMEND
	v_ashrrev_i32_e32 v210, 28, v210
	;;#ASMSTART
	v_cvt_off_f32_i4 v210, v210
	;;#ASMEND
	v_cvt_pk_fp8_f32 v213, v214, v210 op_sel:[0,0,1]
	v_mov_b32_e32 v214, 0
	v_ashrrev_i32_e32 v210, 16, v211
	;;#ASMSTART
	v_cvt_off_f32_i4 v215, v211
	;;#ASMEND
	;;#ASMSTART
	v_cvt_off_f32_i4 v210, v210
	;;#ASMEND
	s_delay_alu instid0(VALU_DEP_1) | instskip(SKIP_4) | instid1(VALU_DEP_1)
	v_cvt_pk_fp8_f32 v214, v215, v210
	v_mov_b32_e32 v215, 0
	v_ashrrev_i32_e32 v210, 8, v211
	;;#ASMSTART
	v_cvt_off_f32_i4 v210, v210
	;;#ASMEND
	;;#ASMSTART
	v_cvt_off_f32_i4 v216, v216
	;;#ASMEND
	v_cvt_pk_fp8_f32 v215, v210, v216
	v_ashrrev_i32_e32 v210, 4, v211
	;;#ASMSTART
	v_cvt_off_f32_i4 v210, v210
	;;#ASMEND
	v_ashrrev_i32_e32 v216, 20, v211
	;;#ASMSTART
	v_cvt_off_f32_i4 v216, v216
	;;#ASMEND
	s_delay_alu instid0(VALU_DEP_1) | instskip(SKIP_4) | instid1(VALU_DEP_1)
	v_cvt_pk_fp8_f32 v214, v210, v216 op_sel:[0,0,1]
	v_ashrrev_i32_e32 v210, 12, v211
	v_ashrrev_i32_e32 v211, 28, v211
	;;#ASMSTART
	v_cvt_off_f32_i4 v210, v210
	;;#ASMEND
	;;#ASMSTART
	v_cvt_off_f32_i4 v211, v211
	;;#ASMEND
	v_cvt_pk_fp8_f32 v215, v210, v211 op_sel:[0,0,1]
	ds_load_b64 v[210:211], v174 offset:16384
	s_wait_dscnt 0x0
	;;#ASMSTART
	v_cvt_off_f32_i4 v217, v210
	;;#ASMEND
	v_ashrrev_i32_e32 v216, 16, v210
	;;#ASMSTART
	v_cvt_off_f32_i4 v218, v216
	;;#ASMEND
	v_mov_b32_e32 v216, 0
	v_ashrrev_i32_e32 v219, 24, v210
	v_ashrrev_i32_e32 v220, 24, v211
	s_delay_alu instid0(VALU_DEP_3) | instskip(SKIP_4) | instid1(VALU_DEP_1)
	v_cvt_pk_fp8_f32 v216, v217, v218
	v_ashrrev_i32_e32 v217, 8, v210
	;;#ASMSTART
	v_cvt_off_f32_i4 v218, v217
	;;#ASMEND
	v_mov_b32_e32 v217, 0
	;;#ASMSTART
	v_cvt_off_f32_i4 v219, v219
	;;#ASMEND
	v_cvt_pk_fp8_f32 v217, v218, v219
	v_ashrrev_i32_e32 v218, 4, v210
	;;#ASMSTART
	v_cvt_off_f32_i4 v218, v218
	;;#ASMEND
	v_ashrrev_i32_e32 v219, 20, v210
	;;#ASMSTART
	v_cvt_off_f32_i4 v219, v219
	;;#ASMEND
	s_delay_alu instid0(VALU_DEP_1) | instskip(SKIP_4) | instid1(VALU_DEP_1)
	v_cvt_pk_fp8_f32 v216, v218, v219 op_sel:[0,0,1]
	v_ashrrev_i32_e32 v218, 12, v210
	;;#ASMSTART
	v_cvt_off_f32_i4 v218, v218
	;;#ASMEND
	v_ashrrev_i32_e32 v210, 28, v210
	;;#ASMSTART
	v_cvt_off_f32_i4 v210, v210
	;;#ASMEND
	v_cvt_pk_fp8_f32 v217, v218, v210 op_sel:[0,0,1]
	v_mov_b32_e32 v218, 0
	v_ashrrev_i32_e32 v210, 16, v211
	;;#ASMSTART
	v_cvt_off_f32_i4 v219, v211
	;;#ASMEND
	;;#ASMSTART
	v_cvt_off_f32_i4 v210, v210
	;;#ASMEND
	s_delay_alu instid0(VALU_DEP_1) | instskip(SKIP_4) | instid1(VALU_DEP_1)
	v_cvt_pk_fp8_f32 v218, v219, v210
	v_mov_b32_e32 v219, 0
	v_ashrrev_i32_e32 v210, 8, v211
	;;#ASMSTART
	v_cvt_off_f32_i4 v210, v210
	;;#ASMEND
	;;#ASMSTART
	v_cvt_off_f32_i4 v220, v220
	;;#ASMEND
	v_cvt_pk_fp8_f32 v219, v210, v220
	v_ashrrev_i32_e32 v210, 4, v211
	;;#ASMSTART
	v_cvt_off_f32_i4 v210, v210
	;;#ASMEND
	v_ashrrev_i32_e32 v220, 20, v211
	;;#ASMSTART
	v_cvt_off_f32_i4 v220, v220
	;;#ASMEND
	s_delay_alu instid0(VALU_DEP_1) | instskip(SKIP_4) | instid1(VALU_DEP_1)
	v_cvt_pk_fp8_f32 v218, v210, v220 op_sel:[0,0,1]
	v_ashrrev_i32_e32 v210, 12, v211
	v_ashrrev_i32_e32 v211, 28, v211
	;;#ASMSTART
	v_cvt_off_f32_i4 v210, v210
	;;#ASMEND
	;;#ASMSTART
	v_cvt_off_f32_i4 v211, v211
	;;#ASMEND
	v_cvt_pk_fp8_f32 v219, v210, v211 op_sel:[0,0,1]
	ds_load_b64 v[210:211], v173 offset:16384
	s_wait_dscnt 0x0
	;;#ASMSTART
	v_cvt_off_f32_i4 v221, v210
	;;#ASMEND
	v_ashrrev_i32_e32 v220, 16, v210
	;;#ASMSTART
	v_cvt_off_f32_i4 v222, v220
	;;#ASMEND
	v_mov_b32_e32 v220, 0
	v_ashrrev_i32_e32 v223, 24, v210
	v_ashrrev_i32_e32 v224, 24, v211
	s_delay_alu instid0(VALU_DEP_3) | instskip(SKIP_4) | instid1(VALU_DEP_1)
	v_cvt_pk_fp8_f32 v220, v221, v222
	v_ashrrev_i32_e32 v221, 8, v210
	;;#ASMSTART
	v_cvt_off_f32_i4 v222, v221
	;;#ASMEND
	v_mov_b32_e32 v221, 0
	;;#ASMSTART
	v_cvt_off_f32_i4 v223, v223
	;;#ASMEND
	v_cvt_pk_fp8_f32 v221, v222, v223
	v_ashrrev_i32_e32 v222, 4, v210
	;;#ASMSTART
	v_cvt_off_f32_i4 v222, v222
	;;#ASMEND
	v_ashrrev_i32_e32 v223, 20, v210
	;;#ASMSTART
	v_cvt_off_f32_i4 v223, v223
	;;#ASMEND
	s_delay_alu instid0(VALU_DEP_1) | instskip(SKIP_4) | instid1(VALU_DEP_1)
	v_cvt_pk_fp8_f32 v220, v222, v223 op_sel:[0,0,1]
	v_ashrrev_i32_e32 v222, 12, v210
	;;#ASMSTART
	v_cvt_off_f32_i4 v222, v222
	;;#ASMEND
	v_ashrrev_i32_e32 v210, 28, v210
	;;#ASMSTART
	v_cvt_off_f32_i4 v210, v210
	;;#ASMEND
	v_cvt_pk_fp8_f32 v221, v222, v210 op_sel:[0,0,1]
	v_mov_b32_e32 v222, 0
	v_ashrrev_i32_e32 v210, 16, v211
	;;#ASMSTART
	v_cvt_off_f32_i4 v223, v211
	;;#ASMEND
	;;#ASMSTART
	v_cvt_off_f32_i4 v210, v210
	;;#ASMEND
	s_delay_alu instid0(VALU_DEP_1) | instskip(SKIP_4) | instid1(VALU_DEP_1)
	v_cvt_pk_fp8_f32 v222, v223, v210
	v_mov_b32_e32 v223, 0
	v_ashrrev_i32_e32 v210, 8, v211
	;;#ASMSTART
	v_cvt_off_f32_i4 v210, v210
	;;#ASMEND
	;;#ASMSTART
	v_cvt_off_f32_i4 v224, v224
	;;#ASMEND
	v_cvt_pk_fp8_f32 v223, v210, v224
	v_ashrrev_i32_e32 v210, 4, v211
	;;#ASMSTART
	v_cvt_off_f32_i4 v210, v210
	;;#ASMEND
	v_ashrrev_i32_e32 v224, 20, v211
	;;#ASMSTART
	v_cvt_off_f32_i4 v224, v224
	;;#ASMEND
	s_delay_alu instid0(VALU_DEP_1) | instskip(SKIP_4) | instid1(VALU_DEP_1)
	v_cvt_pk_fp8_f32 v222, v210, v224 op_sel:[0,0,1]
	v_ashrrev_i32_e32 v210, 12, v211
	v_ashrrev_i32_e32 v211, 28, v211
	;;#ASMSTART
	v_cvt_off_f32_i4 v210, v210
	;;#ASMEND
	;;#ASMSTART
	v_cvt_off_f32_i4 v211, v211
	;;#ASMEND
	v_cvt_pk_fp8_f32 v223, v210, v211 op_sel:[0,0,1]
	ds_load_b64 v[210:211], v172 offset:16384
	s_wait_dscnt 0x0
	;;#ASMSTART
	v_cvt_off_f32_i4 v225, v210
	;;#ASMEND
	v_ashrrev_i32_e32 v224, 16, v210
	;;#ASMSTART
	v_cvt_off_f32_i4 v226, v224
	;;#ASMEND
	v_mov_b32_e32 v224, 0
	v_ashrrev_i32_e32 v227, 24, v210
	v_ashrrev_i32_e32 v228, 24, v211
	s_delay_alu instid0(VALU_DEP_3) | instskip(SKIP_4) | instid1(VALU_DEP_1)
	v_cvt_pk_fp8_f32 v224, v225, v226
	v_ashrrev_i32_e32 v225, 8, v210
	;;#ASMSTART
	v_cvt_off_f32_i4 v226, v225
	;;#ASMEND
	v_mov_b32_e32 v225, 0
	;;#ASMSTART
	v_cvt_off_f32_i4 v227, v227
	;;#ASMEND
	v_cvt_pk_fp8_f32 v225, v226, v227
	v_ashrrev_i32_e32 v226, 4, v210
	;;#ASMSTART
	v_cvt_off_f32_i4 v226, v226
	;;#ASMEND
	v_ashrrev_i32_e32 v227, 20, v210
	;;#ASMSTART
	v_cvt_off_f32_i4 v227, v227
	;;#ASMEND
	s_delay_alu instid0(VALU_DEP_1) | instskip(SKIP_4) | instid1(VALU_DEP_1)
	v_cvt_pk_fp8_f32 v224, v226, v227 op_sel:[0,0,1]
	v_ashrrev_i32_e32 v226, 12, v210
	;;#ASMSTART
	v_cvt_off_f32_i4 v226, v226
	;;#ASMEND
	v_ashrrev_i32_e32 v210, 28, v210
	;;#ASMSTART
	v_cvt_off_f32_i4 v210, v210
	;;#ASMEND
	v_cvt_pk_fp8_f32 v225, v226, v210 op_sel:[0,0,1]
	v_mov_b32_e32 v226, 0
	v_ashrrev_i32_e32 v210, 16, v211
	;;#ASMSTART
	v_cvt_off_f32_i4 v227, v211
	;;#ASMEND
	;;#ASMSTART
	v_cvt_off_f32_i4 v210, v210
	;;#ASMEND
	s_delay_alu instid0(VALU_DEP_1) | instskip(SKIP_4) | instid1(VALU_DEP_1)
	v_cvt_pk_fp8_f32 v226, v227, v210
	v_mov_b32_e32 v227, 0
	v_ashrrev_i32_e32 v210, 8, v211
	;;#ASMSTART
	v_cvt_off_f32_i4 v210, v210
	;;#ASMEND
	;;#ASMSTART
	v_cvt_off_f32_i4 v228, v228
	;;#ASMEND
	v_cvt_pk_fp8_f32 v227, v210, v228
	v_ashrrev_i32_e32 v210, 4, v211
	;;#ASMSTART
	v_cvt_off_f32_i4 v210, v210
	;;#ASMEND
	v_ashrrev_i32_e32 v228, 20, v211
	;;#ASMSTART
	v_cvt_off_f32_i4 v228, v228
	;;#ASMEND
	s_delay_alu instid0(VALU_DEP_1) | instskip(SKIP_4) | instid1(VALU_DEP_1)
	v_cvt_pk_fp8_f32 v226, v210, v228 op_sel:[0,0,1]
	v_ashrrev_i32_e32 v210, 12, v211
	v_ashrrev_i32_e32 v211, 28, v211
	;;#ASMSTART
	v_cvt_off_f32_i4 v210, v210
	;;#ASMEND
	;;#ASMSTART
	v_cvt_off_f32_i4 v211, v211
	;;#ASMEND
	v_cvt_pk_fp8_f32 v227, v210, v211 op_sel:[0,0,1]
	v_add_nc_u32_e32 v210, v193, v191
	; sched_barrier mask(0x00000000)
	s_barrier_signal -1
	s_barrier_wait -1
	; sched_barrier mask(0x00000000)
	v_wmma_f32_16x16x16_fp8_fp8 v[57:64], v[153:154], v[133:134], v[57:64]
	s_delay_alu instid0(VALU_DEP_1)
	v_wmma_f32_16x16x16_fp8_fp8 v[57:64], v[155:156], v[135:136], v[57:64]
	; sched_barrier mask(0x00000000)
	s_setprio 1
	; sched_barrier mask(0x00000000)
	v_wmma_f32_16x16x16_fp8_fp8 v[49:56], v[212:213], v[133:134], v[49:56]
	v_wmma_f32_16x16x16_fp8_fp8 v[33:40], v[153:154], v[137:138], v[33:40]
	;; [unrolled: 1-line block ×60, first 2 shown]
	; sched_barrier mask(0x00000000)
	s_wait_dscnt 0x0
	s_barrier_signal -1
	s_barrier_wait -1
	; sched_barrier mask(0x00000000)
	v_wmma_f32_16x16x16_fp8_fp8 v[1:8], v[224:225], v[81:82], v[1:8]
	s_delay_alu instid0(VALU_DEP_1)
	v_wmma_f32_16x16x16_fp8_fp8 v[1:8], v[226:227], v[83:84], v[1:8]
	; sched_barrier mask(0x00000000)
	s_setprio 0
	; sched_barrier mask(0x00000000)
	s_wait_loadcnt 0x7
	ds_store_b128 v205, v[77:80]
	v_add_nc_u32_e32 v77, v205, v186
	s_wait_alu 0xfffe
	v_add_nc_u32_e64 v213, 2, s7
	v_add_nc_u32_e32 v212, v193, v198
	s_wait_loadcnt 0x6
	ds_store_b128 v77, v[73:76] offset:128
	v_add_nc_u32_e32 v73, v77, v202
	s_delay_alu instid0(VALU_DEP_1)
	v_add_nc_u32_e32 v211, v73, v203
	s_wait_loadcnt 0x5
	ds_store_b128 v73, v[69:72] offset:128
	s_wait_loadcnt 0x4
	ds_store_b128 v211, v[65:68] offset:128
	v_lshrrev_b32_e32 v65, 31, v207
	s_delay_alu instid0(VALU_DEP_1) | instskip(NEXT) | instid1(VALU_DEP_1)
	v_add_nc_u32_e32 v65, v207, v65
	v_ashrrev_i32_e32 v65, 1, v65
	s_wait_loadcnt 0x3
	ds_store_b64 v65, v[145:146] offset:16384
	v_add_nc_u32_e32 v65, v207, v188
	s_delay_alu instid0(VALU_DEP_1) | instskip(NEXT) | instid1(VALU_DEP_1)
	v_lshrrev_b32_e32 v66, 31, v65
	v_add_nc_u32_e32 v66, v65, v66
	v_add_nc_u32_e32 v65, v65, v190
	s_delay_alu instid0(VALU_DEP_2) | instskip(NEXT) | instid1(VALU_DEP_2)
	v_ashrrev_i32_e32 v66, 1, v66
	v_add_nc_u32_e32 v207, v65, v189
	s_wait_loadcnt 0x0
	ds_store_b64 v66, v[151:152] offset:16384
	v_lshrrev_b32_e32 v66, 31, v65
	s_delay_alu instid0(VALU_DEP_1) | instskip(SKIP_1) | instid1(VALU_DEP_2)
	v_add_nc_u32_e32 v66, v65, v66
	v_lshrrev_b32_e32 v65, 31, v207
	v_ashrrev_i32_e32 v66, 1, v66
	s_delay_alu instid0(VALU_DEP_2)
	v_add_nc_u32_e32 v65, v207, v65
	ds_store_b64 v66, v[149:150] offset:16384
	v_ashrrev_i32_e32 v65, 1, v65
	v_sub_nc_u32_e32 v66, v197, v194
	ds_store_b64 v65, v[147:148] offset:16384
	v_sub_nc_u32_e32 v65, v213, v208
	v_sub_nc_u32_e32 v67, v66, v192
	;; [unrolled: 1-line block ×3, first 2 shown]
	v_add_nc_u32_e32 v208, v193, v200
	s_delay_alu instid0(VALU_DEP_4) | instskip(NEXT) | instid1(VALU_DEP_4)
	v_mul_lo_u32 v65, v65, s12
	v_lshlrev_b32_e32 v67, 4, v67
	s_delay_alu instid0(VALU_DEP_1) | instskip(SKIP_1) | instid1(VALU_DEP_2)
	v_add3_u32 v65, v65, v209, v67
	v_lshrrev_b32_e32 v67, 31, v209
	v_lshrrev_b32_e32 v68, 31, v65
	s_delay_alu instid0(VALU_DEP_2) | instskip(SKIP_1) | instid1(VALU_DEP_3)
	v_add_nc_u32_e32 v67, v209, v67
	v_add_nc_u32_e32 v209, v193, v199
	v_add_nc_u32_e32 v68, v65, v68
	v_add_nc_u32_e32 v65, 0x80, v65
	s_delay_alu instid0(VALU_DEP_4) | instskip(NEXT) | instid1(VALU_DEP_3)
	v_ashrrev_i32_e32 v67, 1, v67
	v_ashrrev_i32_e32 v68, 1, v68
	s_delay_alu instid0(VALU_DEP_3) | instskip(SKIP_1) | instid1(VALU_DEP_1)
	v_lshl_add_u32 v214, v66, 4, v65
	v_lshrrev_b32_e32 v66, 31, v65
	v_add_nc_u32_e32 v65, v65, v66
	s_delay_alu instid0(VALU_DEP_3) | instskip(NEXT) | instid1(VALU_DEP_2)
	v_lshrrev_b32_e32 v66, 31, v214
	v_ashrrev_i32_e32 v65, 1, v65
	s_delay_alu instid0(VALU_DEP_2) | instskip(NEXT) | instid1(VALU_DEP_1)
	v_add_nc_u32_e32 v66, v214, v66
	v_ashrrev_i32_e32 v66, 1, v66
	s_clause 0x3
	buffer_load_b64 v[149:150], v67, s[8:11], null offen
	buffer_load_b64 v[145:146], v68, s[8:11], null offen
	buffer_load_b64 v[147:148], v65, s[8:11], null offen
	buffer_load_b64 v[151:152], v66, s[8:11], null offen
	s_clause 0x3
	buffer_load_b128 v[77:80], v210, s[0:3], null offen offset:256
	buffer_load_b128 v[73:76], v208, s[0:3], null offen offset:256
	;; [unrolled: 1-line block ×4, first 2 shown]
	s_wait_dscnt 0x0
	s_barrier_signal -1
	s_barrier_wait -1
	ds_load_b64 v[156:157], v180 offset:16384
	ds_load_b128 v[125:128], v183
	ds_load_b128 v[133:136], v178
	ds_load_b128 v[137:140], v178 offset:4096
	ds_load_b128 v[113:116], v183 offset:4096
	;; [unrolled: 1-line block ×9, first 2 shown]
	ds_load_b128 v[109:112], v181
	ds_load_b128 v[121:124], v183 offset:12288
	ds_load_b128 v[93:96], v182
	ds_load_b128 v[101:104], v181 offset:12288
	ds_load_b128 v[81:84], v182 offset:12288
	s_wait_dscnt 0x10
	;;#ASMSTART
	v_cvt_off_f32_i4 v154, v156
	;;#ASMEND
	v_ashrrev_i32_e32 v153, 16, v156
	;;#ASMSTART
	v_cvt_off_f32_i4 v155, v153
	;;#ASMEND
	v_mov_b32_e32 v153, 0
	v_ashrrev_i32_e32 v158, 24, v156
	v_ashrrev_i32_e32 v159, 24, v157
	s_delay_alu instid0(VALU_DEP_3) | instskip(SKIP_4) | instid1(VALU_DEP_1)
	v_cvt_pk_fp8_f32 v153, v154, v155
	v_ashrrev_i32_e32 v154, 8, v156
	;;#ASMSTART
	v_cvt_off_f32_i4 v155, v154
	;;#ASMEND
	v_mov_b32_e32 v154, 0
	;;#ASMSTART
	v_cvt_off_f32_i4 v158, v158
	;;#ASMEND
	v_cvt_pk_fp8_f32 v154, v155, v158
	v_ashrrev_i32_e32 v155, 4, v156
	;;#ASMSTART
	v_cvt_off_f32_i4 v155, v155
	;;#ASMEND
	v_ashrrev_i32_e32 v158, 20, v156
	;;#ASMSTART
	v_cvt_off_f32_i4 v158, v158
	;;#ASMEND
	s_delay_alu instid0(VALU_DEP_1) | instskip(SKIP_4) | instid1(VALU_DEP_1)
	v_cvt_pk_fp8_f32 v153, v155, v158 op_sel:[0,0,1]
	v_ashrrev_i32_e32 v155, 12, v156
	;;#ASMSTART
	v_cvt_off_f32_i4 v155, v155
	;;#ASMEND
	v_ashrrev_i32_e32 v156, 28, v156
	;;#ASMSTART
	v_cvt_off_f32_i4 v156, v156
	;;#ASMEND
	v_cvt_pk_fp8_f32 v154, v155, v156 op_sel:[0,0,1]
	v_ashrrev_i32_e32 v155, 16, v157
	;;#ASMSTART
	v_cvt_off_f32_i4 v156, v157
	;;#ASMEND
	;;#ASMSTART
	v_cvt_off_f32_i4 v158, v155
	;;#ASMEND
	v_mov_b32_e32 v155, 0
	s_delay_alu instid0(VALU_DEP_1) | instskip(SKIP_4) | instid1(VALU_DEP_1)
	v_cvt_pk_fp8_f32 v155, v156, v158
	v_ashrrev_i32_e32 v156, 8, v157
	;;#ASMSTART
	v_cvt_off_f32_i4 v158, v156
	;;#ASMEND
	v_mov_b32_e32 v156, 0
	;;#ASMSTART
	v_cvt_off_f32_i4 v159, v159
	;;#ASMEND
	v_cvt_pk_fp8_f32 v156, v158, v159
	v_ashrrev_i32_e32 v158, 4, v157
	;;#ASMSTART
	v_cvt_off_f32_i4 v158, v158
	;;#ASMEND
	v_ashrrev_i32_e32 v159, 20, v157
	;;#ASMSTART
	v_cvt_off_f32_i4 v159, v159
	;;#ASMEND
	s_delay_alu instid0(VALU_DEP_1)
	v_cvt_pk_fp8_f32 v155, v158, v159 op_sel:[0,0,1]
	v_ashrrev_i32_e32 v158, 12, v157
	v_ashrrev_i32_e32 v157, 28, v157
	;;#ASMSTART
	v_cvt_off_f32_i4 v158, v158
	;;#ASMEND
	;;#ASMSTART
	v_cvt_off_f32_i4 v157, v157
	;;#ASMEND
	ds_load_b64 v[159:160], v179 offset:16384
	v_cvt_pk_fp8_f32 v156, v158, v157 op_sel:[0,0,1]
	s_wait_dscnt 0x0
	;;#ASMSTART
	v_cvt_off_f32_i4 v158, v159
	;;#ASMEND
	v_ashrrev_i32_e32 v157, 16, v159
	;;#ASMSTART
	v_cvt_off_f32_i4 v161, v157
	;;#ASMEND
	v_mov_b32_e32 v157, 0
	v_ashrrev_i32_e32 v162, 24, v159
	v_ashrrev_i32_e32 v163, 24, v160
	s_delay_alu instid0(VALU_DEP_3) | instskip(SKIP_4) | instid1(VALU_DEP_1)
	v_cvt_pk_fp8_f32 v157, v158, v161
	v_ashrrev_i32_e32 v158, 8, v159
	;;#ASMSTART
	v_cvt_off_f32_i4 v161, v158
	;;#ASMEND
	v_mov_b32_e32 v158, 0
	;;#ASMSTART
	v_cvt_off_f32_i4 v162, v162
	;;#ASMEND
	v_cvt_pk_fp8_f32 v158, v161, v162
	v_ashrrev_i32_e32 v161, 4, v159
	;;#ASMSTART
	v_cvt_off_f32_i4 v161, v161
	;;#ASMEND
	v_ashrrev_i32_e32 v162, 20, v159
	;;#ASMSTART
	v_cvt_off_f32_i4 v162, v162
	;;#ASMEND
	s_delay_alu instid0(VALU_DEP_1) | instskip(SKIP_4) | instid1(VALU_DEP_1)
	v_cvt_pk_fp8_f32 v157, v161, v162 op_sel:[0,0,1]
	v_ashrrev_i32_e32 v161, 12, v159
	;;#ASMSTART
	v_cvt_off_f32_i4 v161, v161
	;;#ASMEND
	v_ashrrev_i32_e32 v159, 28, v159
	;;#ASMSTART
	v_cvt_off_f32_i4 v159, v159
	;;#ASMEND
	v_cvt_pk_fp8_f32 v158, v161, v159 op_sel:[0,0,1]
	v_mov_b32_e32 v161, 0
	v_ashrrev_i32_e32 v159, 16, v160
	;;#ASMSTART
	v_cvt_off_f32_i4 v162, v160
	;;#ASMEND
	;;#ASMSTART
	v_cvt_off_f32_i4 v159, v159
	;;#ASMEND
	s_delay_alu instid0(VALU_DEP_1) | instskip(SKIP_4) | instid1(VALU_DEP_1)
	v_cvt_pk_fp8_f32 v161, v162, v159
	v_mov_b32_e32 v162, 0
	v_ashrrev_i32_e32 v159, 8, v160
	;;#ASMSTART
	v_cvt_off_f32_i4 v159, v159
	;;#ASMEND
	;;#ASMSTART
	v_cvt_off_f32_i4 v163, v163
	;;#ASMEND
	v_cvt_pk_fp8_f32 v162, v159, v163
	v_ashrrev_i32_e32 v159, 4, v160
	;;#ASMSTART
	v_cvt_off_f32_i4 v159, v159
	;;#ASMEND
	v_ashrrev_i32_e32 v163, 20, v160
	;;#ASMSTART
	v_cvt_off_f32_i4 v163, v163
	;;#ASMEND
	s_delay_alu instid0(VALU_DEP_1)
	v_cvt_pk_fp8_f32 v161, v159, v163 op_sel:[0,0,1]
	v_ashrrev_i32_e32 v159, 12, v160
	v_ashrrev_i32_e32 v160, 28, v160
	;;#ASMSTART
	v_cvt_off_f32_i4 v159, v159
	;;#ASMEND
	;;#ASMSTART
	v_cvt_off_f32_i4 v160, v160
	;;#ASMEND
	ds_load_b64 v[164:165], v177 offset:16384
	v_cvt_pk_fp8_f32 v162, v159, v160 op_sel:[0,0,1]
	s_wait_dscnt 0x0
	;;#ASMSTART
	v_cvt_off_f32_i4 v160, v164
	;;#ASMEND
	v_ashrrev_i32_e32 v159, 16, v164
	;;#ASMSTART
	v_cvt_off_f32_i4 v163, v159
	;;#ASMEND
	v_mov_b32_e32 v159, 0
	v_ashrrev_i32_e32 v166, 24, v164
	v_ashrrev_i32_e32 v167, 24, v165
	s_delay_alu instid0(VALU_DEP_3) | instskip(SKIP_4) | instid1(VALU_DEP_1)
	v_cvt_pk_fp8_f32 v159, v160, v163
	v_ashrrev_i32_e32 v160, 8, v164
	;;#ASMSTART
	v_cvt_off_f32_i4 v163, v160
	;;#ASMEND
	v_mov_b32_e32 v160, 0
	;;#ASMSTART
	v_cvt_off_f32_i4 v166, v166
	;;#ASMEND
	v_cvt_pk_fp8_f32 v160, v163, v166
	v_ashrrev_i32_e32 v163, 4, v164
	;;#ASMSTART
	v_cvt_off_f32_i4 v163, v163
	;;#ASMEND
	v_ashrrev_i32_e32 v166, 20, v164
	;;#ASMSTART
	v_cvt_off_f32_i4 v166, v166
	;;#ASMEND
	s_delay_alu instid0(VALU_DEP_1) | instskip(SKIP_4) | instid1(VALU_DEP_1)
	v_cvt_pk_fp8_f32 v159, v163, v166 op_sel:[0,0,1]
	v_ashrrev_i32_e32 v163, 12, v164
	;;#ASMSTART
	v_cvt_off_f32_i4 v163, v163
	;;#ASMEND
	v_ashrrev_i32_e32 v164, 28, v164
	;;#ASMSTART
	v_cvt_off_f32_i4 v164, v164
	;;#ASMEND
	v_cvt_pk_fp8_f32 v160, v163, v164 op_sel:[0,0,1]
	v_ashrrev_i32_e32 v163, 16, v165
	;;#ASMSTART
	v_cvt_off_f32_i4 v164, v165
	;;#ASMEND
	;;#ASMSTART
	v_cvt_off_f32_i4 v166, v163
	;;#ASMEND
	v_mov_b32_e32 v163, 0
	s_delay_alu instid0(VALU_DEP_1) | instskip(SKIP_4) | instid1(VALU_DEP_1)
	v_cvt_pk_fp8_f32 v163, v164, v166
	v_ashrrev_i32_e32 v164, 8, v165
	;;#ASMSTART
	v_cvt_off_f32_i4 v166, v164
	;;#ASMEND
	v_mov_b32_e32 v164, 0
	;;#ASMSTART
	v_cvt_off_f32_i4 v167, v167
	;;#ASMEND
	v_cvt_pk_fp8_f32 v164, v166, v167
	v_ashrrev_i32_e32 v166, 4, v165
	;;#ASMSTART
	v_cvt_off_f32_i4 v166, v166
	;;#ASMEND
	v_ashrrev_i32_e32 v167, 20, v165
	;;#ASMSTART
	v_cvt_off_f32_i4 v167, v167
	;;#ASMEND
	s_delay_alu instid0(VALU_DEP_1)
	v_cvt_pk_fp8_f32 v163, v166, v167 op_sel:[0,0,1]
	v_ashrrev_i32_e32 v166, 12, v165
	v_ashrrev_i32_e32 v165, 28, v165
	;;#ASMSTART
	v_cvt_off_f32_i4 v166, v166
	;;#ASMEND
	;;#ASMSTART
	v_cvt_off_f32_i4 v165, v165
	;;#ASMEND
	ds_load_b64 v[215:216], v176 offset:16384
	v_cvt_pk_fp8_f32 v164, v166, v165 op_sel:[0,0,1]
	s_wait_dscnt 0x0
	;;#ASMSTART
	v_cvt_off_f32_i4 v166, v215
	;;#ASMEND
	v_ashrrev_i32_e32 v165, 16, v215
	;;#ASMSTART
	v_cvt_off_f32_i4 v167, v165
	;;#ASMEND
	v_mov_b32_e32 v165, 0
	v_ashrrev_i32_e32 v168, 24, v215
	v_ashrrev_i32_e32 v217, 24, v216
	s_delay_alu instid0(VALU_DEP_3)
	v_cvt_pk_fp8_f32 v165, v166, v167
	v_ashrrev_i32_e32 v166, 8, v215
	;;#ASMSTART
	v_cvt_off_f32_i4 v167, v166
	;;#ASMEND
	v_mov_b32_e32 v166, 0
	;;#ASMSTART
	v_cvt_off_f32_i4 v168, v168
	;;#ASMEND
	v_add_nc_u32_e32 v207, v207, v204
	s_delay_alu instid0(VALU_DEP_2) | instskip(SKIP_4) | instid1(VALU_DEP_1)
	v_cvt_pk_fp8_f32 v166, v167, v168
	v_ashrrev_i32_e32 v167, 4, v215
	;;#ASMSTART
	v_cvt_off_f32_i4 v167, v167
	;;#ASMEND
	v_ashrrev_i32_e32 v168, 20, v215
	;;#ASMSTART
	v_cvt_off_f32_i4 v168, v168
	;;#ASMEND
	v_cvt_pk_fp8_f32 v165, v167, v168 op_sel:[0,0,1]
	v_ashrrev_i32_e32 v167, 12, v215
	;;#ASMSTART
	v_cvt_off_f32_i4 v167, v167
	;;#ASMEND
	v_ashrrev_i32_e32 v168, 28, v215
	;;#ASMSTART
	v_cvt_off_f32_i4 v168, v168
	;;#ASMEND
	s_delay_alu instid0(VALU_DEP_1) | instskip(SKIP_4) | instid1(VALU_DEP_1)
	v_cvt_pk_fp8_f32 v166, v167, v168 op_sel:[0,0,1]
	v_ashrrev_i32_e32 v167, 16, v216
	;;#ASMSTART
	v_cvt_off_f32_i4 v168, v216
	;;#ASMEND
	;;#ASMSTART
	v_cvt_off_f32_i4 v215, v167
	;;#ASMEND
	v_mov_b32_e32 v167, 0
	v_cvt_pk_fp8_f32 v167, v168, v215
	v_ashrrev_i32_e32 v168, 8, v216
	;;#ASMSTART
	v_cvt_off_f32_i4 v215, v168
	;;#ASMEND
	v_mov_b32_e32 v168, 0
	;;#ASMSTART
	v_cvt_off_f32_i4 v217, v217
	;;#ASMEND
	s_delay_alu instid0(VALU_DEP_1) | instskip(SKIP_4) | instid1(VALU_DEP_1)
	v_cvt_pk_fp8_f32 v168, v215, v217
	v_ashrrev_i32_e32 v215, 4, v216
	;;#ASMSTART
	v_cvt_off_f32_i4 v215, v215
	;;#ASMEND
	v_ashrrev_i32_e32 v217, 20, v216
	;;#ASMSTART
	v_cvt_off_f32_i4 v217, v217
	;;#ASMEND
	v_cvt_pk_fp8_f32 v167, v215, v217 op_sel:[0,0,1]
	v_ashrrev_i32_e32 v215, 12, v216
	v_ashrrev_i32_e32 v216, 28, v216
	;;#ASMSTART
	v_cvt_off_f32_i4 v215, v215
	;;#ASMEND
	;;#ASMSTART
	v_cvt_off_f32_i4 v216, v216
	;;#ASMEND
	s_delay_alu instid0(VALU_DEP_1)
	v_cvt_pk_fp8_f32 v168, v215, v216 op_sel:[0,0,1]
	ds_load_b64 v[215:216], v175 offset:16384
	s_wait_dscnt 0x0
	;;#ASMSTART
	v_cvt_off_f32_i4 v218, v215
	;;#ASMEND
	v_ashrrev_i32_e32 v217, 16, v215
	;;#ASMSTART
	v_cvt_off_f32_i4 v219, v217
	;;#ASMEND
	v_mov_b32_e32 v217, 0
	v_ashrrev_i32_e32 v220, 24, v215
	v_ashrrev_i32_e32 v221, 24, v216
	s_delay_alu instid0(VALU_DEP_3) | instskip(SKIP_4) | instid1(VALU_DEP_1)
	v_cvt_pk_fp8_f32 v217, v218, v219
	v_ashrrev_i32_e32 v218, 8, v215
	;;#ASMSTART
	v_cvt_off_f32_i4 v219, v218
	;;#ASMEND
	v_mov_b32_e32 v218, 0
	;;#ASMSTART
	v_cvt_off_f32_i4 v220, v220
	;;#ASMEND
	v_cvt_pk_fp8_f32 v218, v219, v220
	v_ashrrev_i32_e32 v219, 4, v215
	;;#ASMSTART
	v_cvt_off_f32_i4 v219, v219
	;;#ASMEND
	v_ashrrev_i32_e32 v220, 20, v215
	;;#ASMSTART
	v_cvt_off_f32_i4 v220, v220
	;;#ASMEND
	s_delay_alu instid0(VALU_DEP_1) | instskip(SKIP_4) | instid1(VALU_DEP_1)
	v_cvt_pk_fp8_f32 v217, v219, v220 op_sel:[0,0,1]
	v_ashrrev_i32_e32 v219, 12, v215
	;;#ASMSTART
	v_cvt_off_f32_i4 v219, v219
	;;#ASMEND
	v_ashrrev_i32_e32 v215, 28, v215
	;;#ASMSTART
	v_cvt_off_f32_i4 v215, v215
	;;#ASMEND
	v_cvt_pk_fp8_f32 v218, v219, v215 op_sel:[0,0,1]
	v_mov_b32_e32 v219, 0
	v_ashrrev_i32_e32 v215, 16, v216
	;;#ASMSTART
	v_cvt_off_f32_i4 v220, v216
	;;#ASMEND
	;;#ASMSTART
	v_cvt_off_f32_i4 v215, v215
	;;#ASMEND
	s_delay_alu instid0(VALU_DEP_1) | instskip(SKIP_4) | instid1(VALU_DEP_1)
	v_cvt_pk_fp8_f32 v219, v220, v215
	v_mov_b32_e32 v220, 0
	v_ashrrev_i32_e32 v215, 8, v216
	;;#ASMSTART
	v_cvt_off_f32_i4 v215, v215
	;;#ASMEND
	;;#ASMSTART
	v_cvt_off_f32_i4 v221, v221
	;;#ASMEND
	v_cvt_pk_fp8_f32 v220, v215, v221
	v_ashrrev_i32_e32 v215, 4, v216
	;;#ASMSTART
	v_cvt_off_f32_i4 v215, v215
	;;#ASMEND
	v_ashrrev_i32_e32 v221, 20, v216
	;;#ASMSTART
	v_cvt_off_f32_i4 v221, v221
	;;#ASMEND
	s_delay_alu instid0(VALU_DEP_1) | instskip(SKIP_4) | instid1(VALU_DEP_1)
	v_cvt_pk_fp8_f32 v219, v215, v221 op_sel:[0,0,1]
	v_ashrrev_i32_e32 v215, 12, v216
	v_ashrrev_i32_e32 v216, 28, v216
	;;#ASMSTART
	v_cvt_off_f32_i4 v215, v215
	;;#ASMEND
	;;#ASMSTART
	v_cvt_off_f32_i4 v216, v216
	;;#ASMEND
	v_cvt_pk_fp8_f32 v220, v215, v216 op_sel:[0,0,1]
	ds_load_b64 v[215:216], v174 offset:16384
	s_wait_dscnt 0x0
	;;#ASMSTART
	v_cvt_off_f32_i4 v222, v215
	;;#ASMEND
	v_ashrrev_i32_e32 v221, 16, v215
	;;#ASMSTART
	v_cvt_off_f32_i4 v223, v221
	;;#ASMEND
	v_mov_b32_e32 v221, 0
	v_ashrrev_i32_e32 v224, 24, v215
	v_ashrrev_i32_e32 v225, 24, v216
	s_delay_alu instid0(VALU_DEP_3) | instskip(SKIP_4) | instid1(VALU_DEP_1)
	v_cvt_pk_fp8_f32 v221, v222, v223
	v_ashrrev_i32_e32 v222, 8, v215
	;;#ASMSTART
	v_cvt_off_f32_i4 v223, v222
	;;#ASMEND
	v_mov_b32_e32 v222, 0
	;;#ASMSTART
	v_cvt_off_f32_i4 v224, v224
	;;#ASMEND
	v_cvt_pk_fp8_f32 v222, v223, v224
	v_ashrrev_i32_e32 v223, 4, v215
	;;#ASMSTART
	v_cvt_off_f32_i4 v223, v223
	;;#ASMEND
	v_ashrrev_i32_e32 v224, 20, v215
	;;#ASMSTART
	v_cvt_off_f32_i4 v224, v224
	;;#ASMEND
	s_delay_alu instid0(VALU_DEP_1) | instskip(SKIP_4) | instid1(VALU_DEP_1)
	v_cvt_pk_fp8_f32 v221, v223, v224 op_sel:[0,0,1]
	v_ashrrev_i32_e32 v223, 12, v215
	;;#ASMSTART
	v_cvt_off_f32_i4 v223, v223
	;;#ASMEND
	v_ashrrev_i32_e32 v215, 28, v215
	;;#ASMSTART
	v_cvt_off_f32_i4 v215, v215
	;;#ASMEND
	v_cvt_pk_fp8_f32 v222, v223, v215 op_sel:[0,0,1]
	v_mov_b32_e32 v223, 0
	v_ashrrev_i32_e32 v215, 16, v216
	;;#ASMSTART
	v_cvt_off_f32_i4 v224, v216
	;;#ASMEND
	;;#ASMSTART
	v_cvt_off_f32_i4 v215, v215
	;;#ASMEND
	s_delay_alu instid0(VALU_DEP_1) | instskip(SKIP_4) | instid1(VALU_DEP_1)
	v_cvt_pk_fp8_f32 v223, v224, v215
	v_mov_b32_e32 v224, 0
	v_ashrrev_i32_e32 v215, 8, v216
	;;#ASMSTART
	v_cvt_off_f32_i4 v215, v215
	;;#ASMEND
	;;#ASMSTART
	v_cvt_off_f32_i4 v225, v225
	;;#ASMEND
	v_cvt_pk_fp8_f32 v224, v215, v225
	v_ashrrev_i32_e32 v215, 4, v216
	;;#ASMSTART
	v_cvt_off_f32_i4 v215, v215
	;;#ASMEND
	v_ashrrev_i32_e32 v225, 20, v216
	;;#ASMSTART
	v_cvt_off_f32_i4 v225, v225
	;;#ASMEND
	s_delay_alu instid0(VALU_DEP_1) | instskip(SKIP_4) | instid1(VALU_DEP_1)
	v_cvt_pk_fp8_f32 v223, v215, v225 op_sel:[0,0,1]
	v_ashrrev_i32_e32 v215, 12, v216
	v_ashrrev_i32_e32 v216, 28, v216
	;;#ASMSTART
	v_cvt_off_f32_i4 v215, v215
	;;#ASMEND
	;;#ASMSTART
	v_cvt_off_f32_i4 v216, v216
	;;#ASMEND
	v_cvt_pk_fp8_f32 v224, v215, v216 op_sel:[0,0,1]
	ds_load_b64 v[215:216], v173 offset:16384
	s_wait_dscnt 0x0
	;;#ASMSTART
	v_cvt_off_f32_i4 v226, v215
	;;#ASMEND
	v_ashrrev_i32_e32 v225, 16, v215
	;;#ASMSTART
	v_cvt_off_f32_i4 v227, v225
	;;#ASMEND
	v_mov_b32_e32 v225, 0
	v_ashrrev_i32_e32 v228, 24, v215
	v_ashrrev_i32_e32 v229, 24, v216
	s_delay_alu instid0(VALU_DEP_3) | instskip(SKIP_4) | instid1(VALU_DEP_1)
	v_cvt_pk_fp8_f32 v225, v226, v227
	v_ashrrev_i32_e32 v226, 8, v215
	;;#ASMSTART
	v_cvt_off_f32_i4 v227, v226
	;;#ASMEND
	v_mov_b32_e32 v226, 0
	;;#ASMSTART
	v_cvt_off_f32_i4 v228, v228
	;;#ASMEND
	v_cvt_pk_fp8_f32 v226, v227, v228
	v_ashrrev_i32_e32 v227, 4, v215
	;;#ASMSTART
	v_cvt_off_f32_i4 v227, v227
	;;#ASMEND
	v_ashrrev_i32_e32 v228, 20, v215
	;;#ASMSTART
	v_cvt_off_f32_i4 v228, v228
	;;#ASMEND
	s_delay_alu instid0(VALU_DEP_1) | instskip(SKIP_4) | instid1(VALU_DEP_1)
	v_cvt_pk_fp8_f32 v225, v227, v228 op_sel:[0,0,1]
	v_ashrrev_i32_e32 v227, 12, v215
	;;#ASMSTART
	v_cvt_off_f32_i4 v227, v227
	;;#ASMEND
	v_ashrrev_i32_e32 v215, 28, v215
	;;#ASMSTART
	v_cvt_off_f32_i4 v215, v215
	;;#ASMEND
	v_cvt_pk_fp8_f32 v226, v227, v215 op_sel:[0,0,1]
	v_mov_b32_e32 v227, 0
	v_ashrrev_i32_e32 v215, 16, v216
	;;#ASMSTART
	v_cvt_off_f32_i4 v228, v216
	;;#ASMEND
	;;#ASMSTART
	v_cvt_off_f32_i4 v215, v215
	;;#ASMEND
	s_delay_alu instid0(VALU_DEP_1) | instskip(SKIP_4) | instid1(VALU_DEP_1)
	v_cvt_pk_fp8_f32 v227, v228, v215
	v_mov_b32_e32 v228, 0
	v_ashrrev_i32_e32 v215, 8, v216
	;;#ASMSTART
	v_cvt_off_f32_i4 v215, v215
	;;#ASMEND
	;;#ASMSTART
	v_cvt_off_f32_i4 v229, v229
	;;#ASMEND
	v_cvt_pk_fp8_f32 v228, v215, v229
	v_ashrrev_i32_e32 v215, 4, v216
	;;#ASMSTART
	v_cvt_off_f32_i4 v215, v215
	;;#ASMEND
	v_ashrrev_i32_e32 v229, 20, v216
	;;#ASMSTART
	v_cvt_off_f32_i4 v229, v229
	;;#ASMEND
	s_delay_alu instid0(VALU_DEP_1) | instskip(SKIP_4) | instid1(VALU_DEP_1)
	v_cvt_pk_fp8_f32 v227, v215, v229 op_sel:[0,0,1]
	v_ashrrev_i32_e32 v215, 12, v216
	v_ashrrev_i32_e32 v216, 28, v216
	;;#ASMSTART
	v_cvt_off_f32_i4 v215, v215
	;;#ASMEND
	;;#ASMSTART
	v_cvt_off_f32_i4 v216, v216
	;;#ASMEND
	v_cvt_pk_fp8_f32 v228, v215, v216 op_sel:[0,0,1]
	ds_load_b64 v[215:216], v172 offset:16384
	s_wait_dscnt 0x0
	;;#ASMSTART
	v_cvt_off_f32_i4 v230, v215
	;;#ASMEND
	v_ashrrev_i32_e32 v229, 16, v215
	;;#ASMSTART
	v_cvt_off_f32_i4 v231, v229
	;;#ASMEND
	v_mov_b32_e32 v229, 0
	v_ashrrev_i32_e32 v232, 24, v215
	v_ashrrev_i32_e32 v233, 24, v216
	s_delay_alu instid0(VALU_DEP_3) | instskip(SKIP_4) | instid1(VALU_DEP_1)
	v_cvt_pk_fp8_f32 v229, v230, v231
	v_ashrrev_i32_e32 v230, 8, v215
	;;#ASMSTART
	v_cvt_off_f32_i4 v231, v230
	;;#ASMEND
	v_mov_b32_e32 v230, 0
	;;#ASMSTART
	v_cvt_off_f32_i4 v232, v232
	;;#ASMEND
	v_cvt_pk_fp8_f32 v230, v231, v232
	v_ashrrev_i32_e32 v231, 4, v215
	;;#ASMSTART
	v_cvt_off_f32_i4 v231, v231
	;;#ASMEND
	v_ashrrev_i32_e32 v232, 20, v215
	;;#ASMSTART
	v_cvt_off_f32_i4 v232, v232
	;;#ASMEND
	s_delay_alu instid0(VALU_DEP_1) | instskip(SKIP_4) | instid1(VALU_DEP_1)
	v_cvt_pk_fp8_f32 v229, v231, v232 op_sel:[0,0,1]
	v_ashrrev_i32_e32 v231, 12, v215
	;;#ASMSTART
	v_cvt_off_f32_i4 v231, v231
	;;#ASMEND
	v_ashrrev_i32_e32 v215, 28, v215
	;;#ASMSTART
	v_cvt_off_f32_i4 v215, v215
	;;#ASMEND
	v_cvt_pk_fp8_f32 v230, v231, v215 op_sel:[0,0,1]
	v_mov_b32_e32 v231, 0
	v_ashrrev_i32_e32 v215, 16, v216
	;;#ASMSTART
	v_cvt_off_f32_i4 v232, v216
	;;#ASMEND
	;;#ASMSTART
	v_cvt_off_f32_i4 v215, v215
	;;#ASMEND
	s_delay_alu instid0(VALU_DEP_1) | instskip(SKIP_4) | instid1(VALU_DEP_1)
	v_cvt_pk_fp8_f32 v231, v232, v215
	v_mov_b32_e32 v232, 0
	v_ashrrev_i32_e32 v215, 8, v216
	;;#ASMSTART
	v_cvt_off_f32_i4 v215, v215
	;;#ASMEND
	;;#ASMSTART
	v_cvt_off_f32_i4 v233, v233
	;;#ASMEND
	v_cvt_pk_fp8_f32 v232, v215, v233
	v_ashrrev_i32_e32 v215, 4, v216
	;;#ASMSTART
	v_cvt_off_f32_i4 v215, v215
	;;#ASMEND
	v_ashrrev_i32_e32 v233, 20, v216
	;;#ASMSTART
	v_cvt_off_f32_i4 v233, v233
	;;#ASMEND
	s_delay_alu instid0(VALU_DEP_1) | instskip(SKIP_4) | instid1(VALU_DEP_1)
	v_cvt_pk_fp8_f32 v231, v215, v233 op_sel:[0,0,1]
	v_ashrrev_i32_e32 v215, 12, v216
	v_ashrrev_i32_e32 v216, 28, v216
	;;#ASMSTART
	v_cvt_off_f32_i4 v215, v215
	;;#ASMEND
	;;#ASMSTART
	v_cvt_off_f32_i4 v216, v216
	;;#ASMEND
	v_cvt_pk_fp8_f32 v232, v215, v216 op_sel:[0,0,1]
	v_add_nc_u32_e64 v215, 3, s7
	s_delay_alu instid0(VALU_DEP_1) | instskip(NEXT) | instid1(VALU_DEP_1)
	v_sub_nc_u32_e32 v213, v215, v213
	v_mul_lo_u32 v213, v213, s12
	s_delay_alu instid0(VALU_DEP_1) | instskip(SKIP_3) | instid1(VALU_DEP_1)
	v_add3_u32 v213, v213, v214, 0xffffff80
	; sched_barrier mask(0x00000000)
	s_barrier_signal -1
	s_barrier_wait -1
	; sched_barrier mask(0x00000000)
	v_wmma_f32_16x16x16_fp8_fp8 v[57:64], v[153:154], v[133:134], v[57:64]
	v_wmma_f32_16x16x16_fp8_fp8 v[57:64], v[155:156], v[135:136], v[57:64]
	; sched_barrier mask(0x00000000)
	s_setprio 1
	; sched_barrier mask(0x00000000)
	v_wmma_f32_16x16x16_fp8_fp8 v[49:56], v[217:218], v[133:134], v[49:56]
	v_wmma_f32_16x16x16_fp8_fp8 v[33:40], v[153:154], v[137:138], v[33:40]
	;; [unrolled: 1-line block ×60, first 2 shown]
	; sched_barrier mask(0x00000000)
	s_wait_dscnt 0x0
	s_barrier_signal -1
	s_barrier_wait -1
	; sched_barrier mask(0x00000000)
	v_wmma_f32_16x16x16_fp8_fp8 v[1:8], v[229:230], v[81:82], v[1:8]
	s_delay_alu instid0(VALU_DEP_1)
	v_wmma_f32_16x16x16_fp8_fp8 v[1:8], v[231:232], v[83:84], v[1:8]
	; sched_barrier mask(0x00000000)
	s_setprio 0
	; sched_barrier mask(0x00000000)
	v_add_nc_u32_e32 v81, v211, v187
	v_sub_nc_u32_e32 v83, v215, v215
	v_add_nc_u32_e32 v196, 16, v196
	v_add_nc_u32_e32 v205, v205, v206
	;; [unrolled: 1-line block ×3, first 2 shown]
	s_wait_loadcnt 0x3
	ds_store_b128 v81, v[77:80] offset:128
	v_add_nc_u32_e32 v77, v81, v186
	v_add_nc_u32_e32 v197, 16, v197
	;; [unrolled: 1-line block ×5, first 2 shown]
	s_wait_loadcnt 0x2
	ds_store_b128 v77, v[73:76] offset:256
	v_add3_u32 v73, v81, v201, v202
	v_lshrrev_b32_e32 v81, 31, v213
	v_add_nc_u32_e32 v191, 0x100, v191
	s_delay_alu instid0(VALU_DEP_3)
	v_add_nc_u32_e32 v154, v73, v203
	s_wait_loadcnt 0x1
	ds_store_b128 v73, v[69:72] offset:128
	v_and_b32_e32 v69, 0xff000000, v147
	v_add_nc_u32_e32 v81, v213, v81
	s_wait_loadcnt 0x0
	ds_store_b128 v154, v[65:68] offset:128
	v_lshrrev_b32_e32 v65, 31, v207
	v_and_b32_e32 v68, 0xff00, v148
	v_ashrrev_i32_e32 v81, 1, v81
	s_delay_alu instid0(VALU_DEP_3) | instskip(NEXT) | instid1(VALU_DEP_1)
	v_add_nc_u32_e32 v65, v207, v65
	v_ashrrev_i32_e32 v65, 1, v65
	ds_store_b64 v65, v[149:150] offset:16384
	v_add_nc_u32_e32 v65, v207, v188
	s_delay_alu instid0(VALU_DEP_1) | instskip(SKIP_1) | instid1(VALU_DEP_2)
	v_lshrrev_b32_e32 v66, 31, v65
	v_add_nc_u32_e32 v67, v65, v190
	v_add_nc_u32_e32 v66, v65, v66
	v_and_b32_e32 v65, 0xffff0000, v148
	s_delay_alu instid0(VALU_DEP_2) | instskip(SKIP_2) | instid1(VALU_DEP_1)
	v_ashrrev_i32_e32 v66, 1, v66
	ds_store_b64 v66, v[151:152] offset:16384
	v_and_b32_e32 v66, 0xff, v148
	v_or3_b32 v65, v68, v65, v66
	v_and_b32_e32 v68, 0xff0000, v147
	s_delay_alu instid0(VALU_DEP_2) | instskip(NEXT) | instid1(VALU_DEP_2)
	v_or3_b32 v66, v65, 0, 0
	v_or3_b32 v65, v195, v69, v68
	v_and_b32_e32 v68, 0xff, v147
	s_delay_alu instid0(VALU_DEP_2) | instskip(NEXT) | instid1(VALU_DEP_1)
	v_and_or_b32 v65, 0xff00, v147, v65
	v_or_b32_e32 v65, v65, v68
	v_lshrrev_b32_e32 v68, 31, v67
	s_delay_alu instid0(VALU_DEP_1) | instskip(NEXT) | instid1(VALU_DEP_1)
	v_add_nc_u32_e32 v68, v67, v68
	v_ashrrev_i32_e32 v68, 1, v68
	ds_store_b64 v68, v[65:66] offset:16384
	v_add_nc_u32_e32 v65, v67, v189
	s_delay_alu instid0(VALU_DEP_1) | instskip(SKIP_1) | instid1(VALU_DEP_2)
	v_lshrrev_b32_e32 v66, 31, v65
	v_add_nc_u32_e32 v207, v65, v204
	v_add_nc_u32_e32 v66, v65, v66
	s_delay_alu instid0(VALU_DEP_1)
	v_ashrrev_i32_e32 v66, 1, v66
	ds_store_b64 v66, v[145:146] offset:16384
	s_clause 0x3
	buffer_load_b128 v[77:80], v210, s[0:3], null offen offset:384
	buffer_load_b128 v[73:76], v208, s[0:3], null offen offset:384
	;; [unrolled: 1-line block ×4, first 2 shown]
	buffer_load_b64 v[145:146], v81, s[8:11], null offen
	v_mad_co_u64_u32 v[81:82], null, v83, s12, v[213:214]
	v_lshrrev_b32_e32 v208, 3, v196
	s_delay_alu instid0(VALU_DEP_2) | instskip(SKIP_1) | instid1(VALU_DEP_2)
	v_add_nc_u32_e32 v82, 16, v81
	v_add_nc_u32_e32 v81, 0x90, v81
	v_lshrrev_b32_e32 v84, 31, v82
	s_delay_alu instid0(VALU_DEP_1) | instskip(NEXT) | instid1(VALU_DEP_1)
	v_add_nc_u32_e32 v82, v82, v84
	v_ashrrev_i32_e32 v82, 1, v82
	buffer_load_b64 v[147:148], v82, s[8:11], null offen
	v_lshrrev_b32_e32 v82, 31, v81
	s_delay_alu instid0(VALU_DEP_1) | instskip(NEXT) | instid1(VALU_DEP_1)
	v_add_nc_u32_e32 v82, v81, v82
	v_ashrrev_i32_e32 v82, 1, v82
	buffer_load_b64 v[149:150], v82, s[8:11], null offen
	v_mul_lo_u32 v82, v83, s12
	s_delay_alu instid0(VALU_DEP_1) | instskip(NEXT) | instid1(VALU_DEP_1)
	v_add3_u32 v81, v82, v81, -16
	v_lshrrev_b32_e32 v82, 31, v81
	s_delay_alu instid0(VALU_DEP_1) | instskip(NEXT) | instid1(VALU_DEP_1)
	v_add_nc_u32_e32 v82, v81, v82
	v_ashrrev_i32_e32 v82, 1, v82
	buffer_load_b64 v[151:152], v82, s[8:11], null offen
	v_add_nc_u32_e64 v82, 4, s7
	s_add_co_i32 s7, s7, 2
	s_wait_alu 0xfffe
	s_cmp_lt_i32 s7, s13
	s_delay_alu instid0(VALU_DEP_1) | instskip(NEXT) | instid1(VALU_DEP_1)
	v_sub_nc_u32_e32 v82, v82, v215
	v_mul_lo_u32 v82, v82, s12
	s_delay_alu instid0(VALU_DEP_1)
	v_add3_u32 v209, v82, v81, 0xffffff80
	s_cbranch_scc1 .LBB6_12
; %bb.13:
	s_wait_dscnt 0x0
	s_barrier_signal -1
	s_barrier_wait -1
	ds_load_b64 v[155:156], v180 offset:16384
	ds_load_b128 v[125:128], v183
	ds_load_b128 v[137:140], v178
	ds_load_b128 v[133:136], v178 offset:4096
	ds_load_b128 v[117:120], v183 offset:4096
	;; [unrolled: 1-line block ×9, first 2 shown]
	ds_load_b128 v[109:112], v181
	ds_load_b128 v[121:124], v183 offset:12288
	ds_load_b128 v[93:96], v182
	ds_load_b128 v[101:104], v181 offset:12288
	ds_load_b128 v[81:84], v182 offset:12288
	s_wait_dscnt 0x10
	;;#ASMSTART
	v_cvt_off_f32_i4 v159, v155
	;;#ASMEND
	v_ashrrev_i32_e32 v153, 16, v155
	v_ashrrev_i32_e32 v157, 8, v155
	;; [unrolled: 1-line block ×4, first 2 shown]
	;;#ASMSTART
	v_cvt_off_f32_i4 v153, v153
	;;#ASMEND
	;;#ASMSTART
	v_cvt_off_f32_i4 v161, v157
	;;#ASMEND
	v_ashrrev_i32_e32 v157, 20, v155
	;;#ASMSTART
	v_cvt_off_f32_i4 v162, v158
	;;#ASMEND
	;;#ASMSTART
	v_cvt_off_f32_i4 v160, v160
	;;#ASMEND
	v_ashrrev_i32_e32 v158, 12, v155
	v_ashrrev_i32_e32 v155, 28, v155
	;;#ASMSTART
	v_cvt_off_f32_i4 v163, v157
	;;#ASMEND
	v_ashrrev_i32_e32 v157, 16, v156
	v_ashrrev_i32_e32 v164, 8, v156
	;;#ASMSTART
	v_cvt_off_f32_i4 v165, v158
	;;#ASMEND
	;;#ASMSTART
	v_cvt_off_f32_i4 v166, v155
	;;#ASMEND
	;; [unrolled: 3-line block ×4, first 2 shown]
	v_ashrrev_i32_e32 v155, 24, v156
	v_ashrrev_i32_e32 v157, 4, v156
	;; [unrolled: 1-line block ×5, first 2 shown]
	;;#ASMSTART
	v_cvt_off_f32_i4 v164, v164
	;;#ASMEND
	;;#ASMSTART
	v_cvt_off_f32_i4 v192, v155
	;;#ASMEND
	;; [unrolled: 3-line block ×6, first 2 shown]
	ds_load_b64 v[155:156], v179 offset:16384
	s_wait_dscnt 0x0
	;;#ASMSTART
	v_cvt_off_f32_i4 v196, v155
	;;#ASMEND
	s_lshl_b64 s[0:1], s[24:25], 1
	s_mov_b32 s3, 0
	s_mov_b32 s2, s17
	s_add_nc_u64 s[8:9], s[20:21], s[0:1]
	s_mul_u64 s[0:1], s[22:23], s[2:3]
	s_mov_b32 s7, 4
	v_ashrrev_i32_e32 v157, 16, v155
	v_ashrrev_i32_e32 v158, 8, v155
	v_ashrrev_i32_e32 v197, 24, v155
	v_ashrrev_i32_e32 v198, 4, v155
	;;#ASMSTART
	v_cvt_off_f32_i4 v199, v157
	;;#ASMEND
	v_ashrrev_i32_e32 v157, 20, v155
	;;#ASMSTART
	v_cvt_off_f32_i4 v200, v158
	;;#ASMEND
	;;#ASMSTART
	v_cvt_off_f32_i4 v197, v197
	;;#ASMEND
	;;#ASMSTART
	v_cvt_off_f32_i4 v198, v198
	;;#ASMEND
	v_ashrrev_i32_e32 v158, 12, v155
	v_ashrrev_i32_e32 v155, 28, v155
	;;#ASMSTART
	v_cvt_off_f32_i4 v201, v157
	;;#ASMEND
	v_ashrrev_i32_e32 v157, 16, v156
	v_ashrrev_i32_e32 v202, 8, v156
	;;#ASMSTART
	v_cvt_off_f32_i4 v203, v158
	;;#ASMEND
	;;#ASMSTART
	v_cvt_off_f32_i4 v204, v155
	;;#ASMEND
	;; [unrolled: 3-line block ×4, first 2 shown]
	v_ashrrev_i32_e32 v155, 24, v156
	v_ashrrev_i32_e32 v157, 4, v156
	;; [unrolled: 1-line block ×5, first 2 shown]
	;;#ASMSTART
	v_cvt_off_f32_i4 v202, v202
	;;#ASMEND
	;;#ASMSTART
	v_cvt_off_f32_i4 v209, v155
	;;#ASMEND
	;; [unrolled: 3-line block ×6, first 2 shown]
	ds_load_b64 v[155:156], v177 offset:16384
	s_wait_dscnt 0x0
	;;#ASMSTART
	v_cvt_off_f32_i4 v213, v155
	;;#ASMEND
	v_ashrrev_i32_e32 v157, 16, v155
	v_ashrrev_i32_e32 v158, 8, v155
	;; [unrolled: 1-line block ×4, first 2 shown]
	;;#ASMSTART
	v_cvt_off_f32_i4 v216, v157
	;;#ASMEND
	v_ashrrev_i32_e32 v157, 20, v155
	;;#ASMSTART
	v_cvt_off_f32_i4 v217, v158
	;;#ASMEND
	;;#ASMSTART
	v_cvt_off_f32_i4 v214, v214
	;;#ASMEND
	;; [unrolled: 3-line block ×3, first 2 shown]
	v_ashrrev_i32_e32 v158, 12, v155
	v_ashrrev_i32_e32 v155, 28, v155
	;;#ASMSTART
	v_cvt_off_f32_i4 v218, v157
	;;#ASMEND
	v_ashrrev_i32_e32 v157, 16, v156
	v_ashrrev_i32_e32 v219, 8, v156
	;;#ASMSTART
	v_cvt_off_f32_i4 v220, v158
	;;#ASMEND
	;;#ASMSTART
	v_cvt_off_f32_i4 v221, v155
	;;#ASMEND
	;; [unrolled: 3-line block ×4, first 2 shown]
	v_ashrrev_i32_e32 v155, 24, v156
	v_ashrrev_i32_e32 v157, 4, v156
	;; [unrolled: 1-line block ×5, first 2 shown]
	;;#ASMSTART
	v_cvt_off_f32_i4 v219, v219
	;;#ASMEND
	;;#ASMSTART
	v_cvt_off_f32_i4 v225, v155
	;;#ASMEND
	;;#ASMSTART
	v_cvt_off_f32_i4 v226, v157
	;;#ASMEND
	;;#ASMSTART
	v_cvt_off_f32_i4 v227, v158
	;;#ASMEND
	;;#ASMSTART
	v_cvt_off_f32_i4 v224, v224
	;;#ASMEND
	;;#ASMSTART
	v_cvt_off_f32_i4 v228, v156
	;;#ASMEND
	ds_load_b64 v[155:156], v176 offset:16384
	v_dual_mov_b32 v157, 0 :: v_dual_mov_b32 v158, 0
	s_wait_dscnt 0x0
	;;#ASMSTART
	v_cvt_off_f32_i4 v229, v155
	;;#ASMEND
	s_delay_alu instid0(VALU_DEP_1) | instskip(SKIP_3) | instid1(VALU_DEP_4)
	v_cvt_pk_fp8_f32 v157, v159, v153
	v_mov_b32_e32 v159, 0
	v_cvt_pk_fp8_f32 v158, v161, v162
	v_mov_b32_e32 v153, 0
	v_cvt_pk_fp8_f32 v157, v160, v163 op_sel:[0,0,1]
	v_mov_b32_e32 v160, 0
	v_cvt_pk_fp8_f32 v159, v167, v168
	v_cvt_pk_fp8_f32 v158, v165, v166 op_sel:[0,0,1]
	v_dual_mov_b32 v165, 0 :: v_dual_mov_b32 v166, 0
	s_delay_alu instid0(VALU_DEP_4)
	v_cvt_pk_fp8_f32 v160, v164, v192
	v_mov_b32_e32 v164, 0
	v_cvt_pk_fp8_f32 v159, v193, v194 op_sel:[0,0,1]
	v_ashrrev_i32_e32 v161, 16, v155
	v_ashrrev_i32_e32 v162, 8, v155
	;; [unrolled: 1-line block ×3, first 2 shown]
	;;#ASMSTART
	v_cvt_off_f32_i4 v230, v161
	;;#ASMEND
	v_ashrrev_i32_e32 v161, 20, v155
	v_ashrrev_i32_e32 v167, 4, v155
	;;#ASMSTART
	v_cvt_off_f32_i4 v231, v162
	;;#ASMEND
	;;#ASMSTART
	v_cvt_off_f32_i4 v232, v163
	;;#ASMEND
	;; [unrolled: 3-line block ×3, first 2 shown]
	v_ashrrev_i32_e32 v162, 12, v155
	v_ashrrev_i32_e32 v155, 28, v155
	;;#ASMSTART
	v_cvt_off_f32_i4 v234, v161
	;;#ASMEND
	v_ashrrev_i32_e32 v161, 16, v156
	v_ashrrev_i32_e32 v163, 8, v156
	;;#ASMSTART
	v_cvt_off_f32_i4 v235, v162
	;;#ASMEND
	;;#ASMSTART
	v_cvt_off_f32_i4 v236, v155
	;;#ASMEND
	;; [unrolled: 3-line block ×5, first 2 shown]
	v_ashrrev_i32_e32 v155, 24, v156
	v_ashrrev_i32_e32 v161, 4, v156
	;; [unrolled: 1-line block ×5, first 2 shown]
	;;#ASMSTART
	v_cvt_off_f32_i4 v240, v155
	;;#ASMEND
	;;#ASMSTART
	v_cvt_off_f32_i4 v241, v161
	;;#ASMEND
	;; [unrolled: 3-line block ×5, first 2 shown]
	ds_load_b64 v[155:156], v175 offset:16384
	v_dual_mov_b32 v161, 0 :: v_dual_mov_b32 v162, 0
	v_mov_b32_e32 v163, 0
	v_cvt_pk_fp8_f32 v164, v202, v209
	v_cvt_pk_fp8_f32 v160, v191, v195 op_sel:[0,0,1]
	s_delay_alu instid0(VALU_DEP_4)
	v_cvt_pk_fp8_f32 v161, v196, v199
	v_cvt_pk_fp8_f32 v162, v200, v197
	;; [unrolled: 1-line block ×3, first 2 shown]
	s_wait_dscnt 0x0
	;;#ASMSTART
	v_cvt_off_f32_i4 v197, v155
	;;#ASMEND
	v_cvt_pk_fp8_f32 v164, v208, v212 op_sel:[0,0,1]
	v_cvt_pk_fp8_f32 v161, v198, v201 op_sel:[0,0,1]
	;; [unrolled: 1-line block ×4, first 2 shown]
	v_cvt_pk_fp8_f32 v166, v217, v214
	v_dual_mov_b32 v194, 0 :: v_dual_mov_b32 v195, 0
	v_mov_b32_e32 v193, 0
	s_delay_alu instid0(VALU_DEP_3)
	v_cvt_pk_fp8_f32 v166, v220, v221 op_sel:[0,0,1]
	v_ashrrev_i32_e32 v167, 16, v155
	v_ashrrev_i32_e32 v168, 8, v155
	;; [unrolled: 1-line block ×3, first 2 shown]
	;;#ASMSTART
	v_cvt_off_f32_i4 v198, v167
	;;#ASMEND
	v_ashrrev_i32_e32 v167, 20, v155
	v_ashrrev_i32_e32 v192, 4, v155
	;;#ASMSTART
	v_cvt_off_f32_i4 v199, v168
	;;#ASMEND
	;;#ASMSTART
	v_cvt_off_f32_i4 v200, v191
	;;#ASMEND
	;; [unrolled: 3-line block ×3, first 2 shown]
	v_ashrrev_i32_e32 v168, 12, v155
	v_ashrrev_i32_e32 v155, 28, v155
	;;#ASMSTART
	v_cvt_off_f32_i4 v202, v167
	;;#ASMEND
	v_ashrrev_i32_e32 v167, 16, v156
	v_ashrrev_i32_e32 v191, 8, v156
	;;#ASMSTART
	v_cvt_off_f32_i4 v203, v168
	;;#ASMEND
	;;#ASMSTART
	v_cvt_off_f32_i4 v204, v155
	;;#ASMEND
	;; [unrolled: 3-line block ×5, first 2 shown]
	v_ashrrev_i32_e32 v155, 24, v156
	v_ashrrev_i32_e32 v167, 4, v156
	;; [unrolled: 1-line block ×5, first 2 shown]
	;;#ASMSTART
	v_cvt_off_f32_i4 v209, v155
	;;#ASMEND
	;;#ASMSTART
	v_cvt_off_f32_i4 v210, v167
	;;#ASMEND
	;; [unrolled: 3-line block ×4, first 2 shown]
	v_mov_b32_e32 v168, 0
	v_cvt_pk_fp8_f32 v165, v213, v216
	;;#ASMSTART
	v_cvt_off_f32_i4 v213, v156
	;;#ASMEND
	ds_load_b64 v[155:156], v174 offset:16384
	v_dual_mov_b32 v167, 0 :: v_dual_mov_b32 v192, 0
	v_cvt_pk_fp8_f32 v168, v219, v225
	v_mov_b32_e32 v191, 0
	v_cvt_pk_fp8_f32 v165, v215, v218 op_sel:[0,0,1]
	s_delay_alu instid0(VALU_DEP_4)
	v_cvt_pk_fp8_f32 v167, v222, v223
	s_wait_dscnt 0x0
	;;#ASMSTART
	v_cvt_off_f32_i4 v215, v155
	;;#ASMEND
	v_cvt_pk_fp8_f32 v168, v224, v228 op_sel:[0,0,1]
	v_cvt_pk_fp8_f32 v191, v229, v230
	v_cvt_pk_fp8_f32 v195, v197, v198
	v_cvt_pk_fp8_f32 v167, v226, v227 op_sel:[0,0,1]
	v_dual_mov_b32 v197, 0 :: v_dual_mov_b32 v198, 0
	v_cvt_pk_fp8_f32 v192, v231, v232
	s_delay_alu instid0(VALU_DEP_4)
	v_cvt_pk_fp8_f32 v195, v201, v202 op_sel:[0,0,1]
	v_mov_b32_e32 v202, 0
	v_cvt_pk_fp8_f32 v191, v233, v234 op_sel:[0,0,1]
	v_cvt_pk_fp8_f32 v198, v208, v209
	v_cvt_pk_fp8_f32 v192, v235, v236 op_sel:[0,0,1]
	v_ashrrev_i32_e32 v196, 16, v155
	v_ashrrev_i32_e32 v214, 8, v155
	;; [unrolled: 1-line block ×4, first 2 shown]
	;;#ASMSTART
	v_cvt_off_f32_i4 v218, v196
	;;#ASMEND
	v_ashrrev_i32_e32 v196, 20, v155
	;;#ASMSTART
	v_cvt_off_f32_i4 v214, v214
	;;#ASMEND
	;;#ASMSTART
	v_cvt_off_f32_i4 v216, v216
	;;#ASMEND
	;; [unrolled: 3-line block ×3, first 2 shown]
	v_ashrrev_i32_e32 v219, 12, v155
	v_ashrrev_i32_e32 v155, 28, v155
	;;#ASMSTART
	v_cvt_off_f32_i4 v220, v196
	;;#ASMEND
	v_ashrrev_i32_e32 v196, 16, v156
	v_ashrrev_i32_e32 v221, 8, v156
	;;#ASMSTART
	v_cvt_off_f32_i4 v219, v219
	;;#ASMEND
	;;#ASMSTART
	v_cvt_off_f32_i4 v222, v155
	;;#ASMEND
	;; [unrolled: 3-line block ×4, first 2 shown]
	v_ashrrev_i32_e32 v155, 24, v156
	v_ashrrev_i32_e32 v196, 4, v156
	;; [unrolled: 1-line block ×5, first 2 shown]
	;;#ASMSTART
	v_cvt_off_f32_i4 v221, v221
	;;#ASMEND
	;;#ASMSTART
	v_cvt_off_f32_i4 v227, v155
	;;#ASMEND
	;; [unrolled: 3-line block ×6, first 2 shown]
	ds_load_b64 v[155:156], v173 offset:16384
	v_mov_b32_e32 v196, 0
	s_wait_dscnt 0x0
	;;#ASMSTART
	v_cvt_off_f32_i4 v208, v155
	;;#ASMEND
	v_cvt_pk_fp8_f32 v193, v237, v238
	v_mov_b32_e32 v201, 0
	v_cvt_pk_fp8_f32 v198, v212, v213 op_sel:[0,0,1]
	v_cvt_pk_fp8_f32 v196, v199, v200
	v_dual_mov_b32 v199, 0 :: v_dual_mov_b32 v200, 0
	v_cvt_pk_fp8_f32 v197, v205, v206
	v_cvt_pk_fp8_f32 v194, v239, v240
	s_delay_alu instid0(VALU_DEP_4) | instskip(NEXT) | instid1(VALU_DEP_4)
	v_cvt_pk_fp8_f32 v196, v203, v204 op_sel:[0,0,1]
	v_cvt_pk_fp8_f32 v199, v215, v218
	v_cvt_pk_fp8_f32 v200, v214, v216
	v_cvt_pk_fp8_f32 v197, v210, v211 op_sel:[0,0,1]
	v_cvt_pk_fp8_f32 v202, v221, v227
	v_cvt_pk_fp8_f32 v193, v241, v242 op_sel:[0,0,1]
	v_cvt_pk_fp8_f32 v194, v243, v244 op_sel:[0,0,1]
	;; [unrolled: 1-line block ×4, first 2 shown]
	v_ashrrev_i32_e32 v203, 16, v155
	v_ashrrev_i32_e32 v204, 8, v155
	;; [unrolled: 1-line block ×3, first 2 shown]
	;;#ASMSTART
	v_cvt_off_f32_i4 v209, v203
	;;#ASMEND
	v_ashrrev_i32_e32 v203, 20, v155
	v_ashrrev_i32_e32 v206, 4, v155
	;;#ASMSTART
	v_cvt_off_f32_i4 v210, v204
	;;#ASMEND
	;;#ASMSTART
	v_cvt_off_f32_i4 v211, v205
	;;#ASMEND
	;; [unrolled: 3-line block ×3, first 2 shown]
	v_ashrrev_i32_e32 v204, 12, v155
	v_ashrrev_i32_e32 v155, 28, v155
	;;#ASMSTART
	v_cvt_off_f32_i4 v215, v203
	;;#ASMEND
	v_ashrrev_i32_e32 v203, 16, v156
	v_ashrrev_i32_e32 v205, 8, v156
	;;#ASMSTART
	v_cvt_off_f32_i4 v216, v204
	;;#ASMEND
	;;#ASMSTART
	v_cvt_off_f32_i4 v218, v155
	;;#ASMEND
	;; [unrolled: 3-line block ×5, first 2 shown]
	v_ashrrev_i32_e32 v155, 24, v156
	v_ashrrev_i32_e32 v203, 4, v156
	;; [unrolled: 1-line block ×5, first 2 shown]
	;;#ASMSTART
	v_cvt_off_f32_i4 v233, v155
	;;#ASMEND
	;;#ASMSTART
	v_cvt_off_f32_i4 v234, v203
	;;#ASMEND
	;; [unrolled: 3-line block ×5, first 2 shown]
	ds_load_b64 v[155:156], v172 offset:16384
	v_dual_mov_b32 v203, 0 :: v_dual_mov_b32 v206, 0
	v_dual_mov_b32 v204, 0 :: v_dual_mov_b32 v205, 0
	v_cvt_pk_fp8_f32 v201, v223, v224
	s_delay_alu instid0(VALU_DEP_3) | instskip(SKIP_1) | instid1(VALU_DEP_4)
	v_cvt_pk_fp8_f32 v203, v208, v209
	v_mov_b32_e32 v208, 0
	v_cvt_pk_fp8_f32 v204, v210, v211
	s_wait_dscnt 0x0
	;;#ASMSTART
	v_cvt_off_f32_i4 v210, v155
	;;#ASMEND
	v_cvt_pk_fp8_f32 v205, v230, v231
	v_cvt_pk_fp8_f32 v206, v232, v233
	v_cvt_pk_fp8_f32 v203, v214, v215 op_sel:[0,0,1]
	v_cvt_pk_fp8_f32 v201, v228, v225 op_sel:[0,0,1]
	;; [unrolled: 1-line block ×6, first 2 shown]
	v_ashrrev_i32_e32 v209, 16, v155
	;;#ASMSTART
	v_cvt_off_f32_i4 v209, v209
	;;#ASMEND
	s_delay_alu instid0(VALU_DEP_1)
	v_cvt_pk_fp8_f32 v208, v210, v209
	v_mov_b32_e32 v209, 0
	v_ashrrev_i32_e32 v211, 8, v155
	v_ashrrev_i32_e32 v212, 24, v155
	;;#ASMSTART
	v_cvt_off_f32_i4 v210, v211
	;;#ASMEND
	;;#ASMSTART
	v_cvt_off_f32_i4 v211, v212
	;;#ASMEND
	s_delay_alu instid0(VALU_DEP_2)
	v_cvt_pk_fp8_f32 v209, v210, v211
	v_ashrrev_i32_e32 v212, 4, v155
	v_ashrrev_i32_e32 v210, 12, v155
	;; [unrolled: 1-line block ×4, first 2 shown]
	;;#ASMSTART
	v_cvt_off_f32_i4 v211, v212
	;;#ASMEND
	;;#ASMSTART
	v_cvt_off_f32_i4 v212, v213
	;;#ASMEND
	;; [unrolled: 3-line block ×4, first 2 shown]
	v_cvt_pk_fp8_f32 v209, v210, v155 op_sel:[0,0,1]
	v_mov_b32_e32 v210, 0
	v_cvt_pk_fp8_f32 v208, v211, v212 op_sel:[0,0,1]
	v_ashrrev_i32_e32 v155, 16, v156
	;;#ASMSTART
	v_cvt_off_f32_i4 v211, v156
	;;#ASMEND
	;;#ASMSTART
	v_cvt_off_f32_i4 v155, v155
	;;#ASMEND
	s_delay_alu instid0(VALU_DEP_1)
	v_cvt_pk_fp8_f32 v210, v211, v155
	v_mov_b32_e32 v211, 0
	v_ashrrev_i32_e32 v212, 8, v156
	v_ashrrev_i32_e32 v213, 24, v156
	;;#ASMSTART
	v_cvt_off_f32_i4 v155, v212
	;;#ASMEND
	;;#ASMSTART
	v_cvt_off_f32_i4 v212, v213
	;;#ASMEND
	s_delay_alu instid0(VALU_DEP_2)
	v_cvt_pk_fp8_f32 v211, v155, v212
	v_ashrrev_i32_e32 v213, 4, v156
	v_ashrrev_i32_e32 v214, 20, v156
	;; [unrolled: 1-line block ×4, first 2 shown]
	;;#ASMSTART
	v_cvt_off_f32_i4 v212, v213
	;;#ASMEND
	;;#ASMSTART
	v_cvt_off_f32_i4 v213, v214
	;;#ASMEND
	v_cvt_pk_fp8_f32 v210, v212, v213 op_sel:[0,0,1]
	;;#ASMSTART
	v_cvt_off_f32_i4 v155, v155
	;;#ASMEND
	;;#ASMSTART
	v_cvt_off_f32_i4 v156, v156
	;;#ASMEND
	v_cvt_pk_fp8_f32 v211, v155, v156 op_sel:[0,0,1]
	; sched_barrier mask(0x00000000)
	s_barrier_signal -1
	s_barrier_wait -1
	; sched_barrier mask(0x00000000)
	v_wmma_f32_16x16x16_fp8_fp8 v[57:64], v[157:158], v[137:138], v[57:64]
	s_delay_alu instid0(VALU_DEP_1)
	v_wmma_f32_16x16x16_fp8_fp8 v[57:64], v[159:160], v[139:140], v[57:64]
	; sched_barrier mask(0x00000000)
	s_setprio 1
	; sched_barrier mask(0x00000000)
	v_wmma_f32_16x16x16_fp8_fp8 v[49:56], v[195:196], v[137:138], v[49:56]
	v_wmma_f32_16x16x16_fp8_fp8 v[33:40], v[157:158], v[133:134], v[33:40]
	;; [unrolled: 1-line block ×60, first 2 shown]
	; sched_barrier mask(0x00000000)
	s_wait_dscnt 0x0
	s_barrier_signal -1
	s_barrier_wait -1
	; sched_barrier mask(0x00000000)
	v_wmma_f32_16x16x16_fp8_fp8 v[1:8], v[208:209], v[81:82], v[1:8]
	s_delay_alu instid0(VALU_DEP_1) | instskip(SKIP_4) | instid1(VALU_DEP_3)
	v_wmma_f32_16x16x16_fp8_fp8 v[1:8], v[210:211], v[83:84], v[1:8]
	; sched_barrier mask(0x00000000)
	s_setprio 0
	; sched_barrier mask(0x00000000)
	v_add_nc_u32_e32 v81, v207, v188
	v_add_nc_u32_e32 v82, v154, v187
	v_lshrrev_b32_e32 v84, 31, v207
	v_add_nc_u32_e32 v83, v81, v190
	s_delay_alu instid0(VALU_DEP_3)
	v_add_nc_u32_e32 v85, v82, v186
	s_wait_loadcnt 0x7
	ds_store_b128 v82, v[77:80] offset:128
	v_add_nc_u32_e32 v78, v207, v84
	v_lshrrev_b32_e32 v79, 31, v81
	v_add_nc_u32_e32 v77, v83, v189
	s_wait_loadcnt 0x6
	ds_store_b128 v85, v[73:76] offset:256
	v_lshrrev_b32_e32 v73, 31, v83
	v_add_nc_u32_e32 v75, v85, v184
	v_ashrrev_i32_e32 v76, 1, v78
	v_lshrrev_b32_e32 v74, 31, v77
	v_add_nc_u32_e32 v78, v81, v79
	v_add_nc_u32_e32 v73, v83, v73
	s_wait_loadcnt 0x5
	ds_store_b128 v75, v[69:72] offset:384
	v_add_nc_u32_e32 v74, v77, v74
	v_add_nc_u32_e32 v77, v75, v185
	v_ashrrev_i32_e32 v69, 1, v78
	v_ashrrev_i32_e32 v70, 1, v73
	s_delay_alu instid0(VALU_DEP_4)
	v_ashrrev_i32_e32 v71, 1, v74
	s_wait_loadcnt 0x4
	ds_store_b128 v77, v[65:68] offset:512
	s_wait_loadcnt 0x3
	ds_store_b64 v76, v[145:146] offset:16384
	s_wait_loadcnt 0x0
	ds_store_b64 v69, v[151:152] offset:16384
	ds_store_b64 v70, v[149:150] offset:16384
	;; [unrolled: 1-line block ×3, first 2 shown]
	s_wait_dscnt 0x0
	s_barrier_signal -1
	s_barrier_wait -1
	ds_load_b64 v[129:130], v180 offset:16384
	ds_load_b128 v[109:112], v183
	ds_load_b128 v[121:124], v178
	ds_load_b128 v[117:120], v178 offset:4096
	ds_load_b128 v[101:104], v183 offset:4096
	;; [unrolled: 1-line block ×9, first 2 shown]
	ds_load_b128 v[93:96], v181
	ds_load_b128 v[105:108], v183 offset:12288
	ds_load_b128 v[77:80], v182
	ds_load_b128 v[85:88], v181 offset:12288
	ds_load_b128 v[65:68], v182 offset:12288
	s_wait_dscnt 0x10
	;;#ASMSTART
	v_cvt_off_f32_i4 v133, v129
	;;#ASMEND
	v_ashrrev_i32_e32 v131, 16, v129
	v_ashrrev_i32_e32 v132, 8, v129
	;; [unrolled: 1-line block ×5, first 2 shown]
	;;#ASMSTART
	v_cvt_off_f32_i4 v137, v131
	;;#ASMEND
	;;#ASMSTART
	v_cvt_off_f32_i4 v138, v132
	;;#ASMEND
	v_ashrrev_i32_e32 v131, 12, v129
	v_ashrrev_i32_e32 v129, 28, v129
	;; [unrolled: 1-line block ×3, first 2 shown]
	;;#ASMSTART
	v_cvt_off_f32_i4 v134, v134
	;;#ASMEND
	;;#ASMSTART
	v_cvt_off_f32_i4 v135, v135
	;;#ASMEND
	;; [unrolled: 3-line block ×3, first 2 shown]
	v_ashrrev_i32_e32 v139, 8, v130
	;;#ASMSTART
	v_cvt_off_f32_i4 v140, v131
	;;#ASMEND
	;;#ASMSTART
	v_cvt_off_f32_i4 v141, v129
	;;#ASMEND
	;; [unrolled: 3-line block ×4, first 2 shown]
	v_ashrrev_i32_e32 v129, 24, v130
	v_ashrrev_i32_e32 v131, 4, v130
	;; [unrolled: 1-line block ×5, first 2 shown]
	;;#ASMSTART
	v_cvt_off_f32_i4 v139, v139
	;;#ASMEND
	;;#ASMSTART
	v_cvt_off_f32_i4 v145, v129
	;;#ASMEND
	;; [unrolled: 3-line block ×6, first 2 shown]
	ds_load_b64 v[129:130], v179 offset:16384
	s_wait_dscnt 0x0
	;;#ASMSTART
	v_cvt_off_f32_i4 v149, v129
	;;#ASMEND
	v_ashrrev_i32_e32 v131, 16, v129
	v_ashrrev_i32_e32 v132, 8, v129
	;; [unrolled: 1-line block ×4, first 2 shown]
	;;#ASMSTART
	v_cvt_off_f32_i4 v152, v131
	;;#ASMEND
	v_ashrrev_i32_e32 v131, 20, v129
	;;#ASMSTART
	v_cvt_off_f32_i4 v154, v132
	;;#ASMEND
	;;#ASMSTART
	v_cvt_off_f32_i4 v150, v150
	;;#ASMEND
	;; [unrolled: 3-line block ×3, first 2 shown]
	v_ashrrev_i32_e32 v132, 12, v129
	v_ashrrev_i32_e32 v129, 28, v129
	;;#ASMSTART
	v_cvt_off_f32_i4 v155, v131
	;;#ASMEND
	v_ashrrev_i32_e32 v131, 16, v130
	v_ashrrev_i32_e32 v156, 8, v130
	;;#ASMSTART
	v_cvt_off_f32_i4 v157, v132
	;;#ASMEND
	;;#ASMSTART
	v_cvt_off_f32_i4 v158, v129
	;;#ASMEND
	;;#ASMSTART
	v_cvt_off_f32_i4 v159, v130
	;;#ASMEND
	;;#ASMSTART
	v_cvt_off_f32_i4 v160, v131
	;;#ASMEND
	v_ashrrev_i32_e32 v129, 24, v130
	v_ashrrev_i32_e32 v131, 4, v130
	;; [unrolled: 1-line block ×5, first 2 shown]
	;;#ASMSTART
	v_cvt_off_f32_i4 v156, v156
	;;#ASMEND
	;;#ASMSTART
	v_cvt_off_f32_i4 v162, v129
	;;#ASMEND
	;; [unrolled: 3-line block ×6, first 2 shown]
	ds_load_b64 v[129:130], v177 offset:16384
	s_wait_dscnt 0x0
	;;#ASMSTART
	v_cvt_off_f32_i4 v166, v129
	;;#ASMEND
	v_ashrrev_i32_e32 v131, 16, v129
	v_ashrrev_i32_e32 v132, 8, v129
	;; [unrolled: 1-line block ×4, first 2 shown]
	;;#ASMSTART
	v_cvt_off_f32_i4 v177, v131
	;;#ASMEND
	v_ashrrev_i32_e32 v131, 20, v129
	;;#ASMSTART
	v_cvt_off_f32_i4 v178, v132
	;;#ASMEND
	;;#ASMSTART
	v_cvt_off_f32_i4 v167, v167
	;;#ASMEND
	;; [unrolled: 3-line block ×3, first 2 shown]
	v_ashrrev_i32_e32 v132, 12, v129
	v_ashrrev_i32_e32 v129, 28, v129
	;;#ASMSTART
	v_cvt_off_f32_i4 v179, v131
	;;#ASMEND
	v_ashrrev_i32_e32 v131, 16, v130
	v_ashrrev_i32_e32 v180, 8, v130
	;;#ASMSTART
	v_cvt_off_f32_i4 v181, v132
	;;#ASMEND
	;;#ASMSTART
	v_cvt_off_f32_i4 v182, v129
	;;#ASMEND
	;; [unrolled: 3-line block ×4, first 2 shown]
	v_ashrrev_i32_e32 v129, 24, v130
	v_ashrrev_i32_e32 v131, 4, v130
	;; [unrolled: 1-line block ×5, first 2 shown]
	;;#ASMSTART
	v_cvt_off_f32_i4 v180, v180
	;;#ASMEND
	;;#ASMSTART
	v_cvt_off_f32_i4 v186, v129
	;;#ASMEND
	;; [unrolled: 3-line block ×6, first 2 shown]
	ds_load_b64 v[129:130], v176 offset:16384
	v_dual_mov_b32 v131, 0 :: v_dual_mov_b32 v132, 0
	s_wait_dscnt 0x0
	;;#ASMSTART
	v_cvt_off_f32_i4 v176, v129
	;;#ASMEND
	s_delay_alu instid0(VALU_DEP_1) | instskip(NEXT) | instid1(VALU_DEP_2)
	v_cvt_pk_fp8_f32 v131, v133, v137
	v_cvt_pk_fp8_f32 v132, v138, v134
	v_dual_mov_b32 v134, 0 :: v_dual_mov_b32 v133, 0
	s_delay_alu instid0(VALU_DEP_3) | instskip(NEXT) | instid1(VALU_DEP_3)
	v_cvt_pk_fp8_f32 v131, v135, v136 op_sel:[0,0,1]
	v_cvt_pk_fp8_f32 v132, v140, v141 op_sel:[0,0,1]
	s_delay_alu instid0(VALU_DEP_3) | instskip(NEXT) | instid1(VALU_DEP_4)
	v_cvt_pk_fp8_f32 v134, v139, v145
	v_cvt_pk_fp8_f32 v133, v142, v143
	v_dual_mov_b32 v139, 0 :: v_dual_mov_b32 v140, 0
	v_mov_b32_e32 v145, 0
	s_delay_alu instid0(VALU_DEP_4) | instskip(NEXT) | instid1(VALU_DEP_4)
	v_cvt_pk_fp8_f32 v134, v144, v148 op_sel:[0,0,1]
	v_cvt_pk_fp8_f32 v133, v146, v147 op_sel:[0,0,1]
	v_ashrrev_i32_e32 v135, 16, v129
	v_ashrrev_i32_e32 v136, 8, v129
	;; [unrolled: 1-line block ×3, first 2 shown]
	;;#ASMSTART
	v_cvt_off_f32_i4 v190, v135
	;;#ASMEND
	v_ashrrev_i32_e32 v135, 20, v129
	v_ashrrev_i32_e32 v138, 4, v129
	;;#ASMSTART
	v_cvt_off_f32_i4 v191, v136
	;;#ASMEND
	;;#ASMSTART
	v_cvt_off_f32_i4 v192, v137
	;;#ASMEND
	;;#ASMSTART
	v_cvt_off_f32_i4 v193, v138
	;;#ASMEND
	v_ashrrev_i32_e32 v136, 12, v129
	v_ashrrev_i32_e32 v129, 28, v129
	;;#ASMSTART
	v_cvt_off_f32_i4 v194, v135
	;;#ASMEND
	v_ashrrev_i32_e32 v135, 16, v130
	v_ashrrev_i32_e32 v137, 8, v130
	;;#ASMSTART
	v_cvt_off_f32_i4 v195, v136
	;;#ASMEND
	;;#ASMSTART
	v_cvt_off_f32_i4 v196, v129
	;;#ASMEND
	;; [unrolled: 3-line block ×5, first 2 shown]
	v_ashrrev_i32_e32 v129, 24, v130
	v_ashrrev_i32_e32 v135, 4, v130
	;; [unrolled: 1-line block ×5, first 2 shown]
	;;#ASMSTART
	v_cvt_off_f32_i4 v200, v129
	;;#ASMEND
	;;#ASMSTART
	v_cvt_off_f32_i4 v201, v135
	;;#ASMEND
	;; [unrolled: 3-line block ×5, first 2 shown]
	ds_load_b64 v[129:130], v175 offset:16384
	v_dual_mov_b32 v135, 0 :: v_dual_mov_b32 v136, 0
	v_dual_mov_b32 v137, 0 :: v_dual_mov_b32 v138, 0
	v_mov_b32_e32 v146, 0
	s_delay_alu instid0(VALU_DEP_3) | instskip(NEXT) | instid1(VALU_DEP_4)
	v_cvt_pk_fp8_f32 v135, v149, v152
	v_cvt_pk_fp8_f32 v136, v154, v150
	s_delay_alu instid0(VALU_DEP_4)
	v_cvt_pk_fp8_f32 v137, v159, v160
	v_cvt_pk_fp8_f32 v138, v156, v162
	s_wait_dscnt 0x0
	;;#ASMSTART
	v_cvt_off_f32_i4 v149, v129
	;;#ASMEND
	v_cvt_pk_fp8_f32 v135, v151, v155 op_sel:[0,0,1]
	v_cvt_pk_fp8_f32 v136, v157, v158 op_sel:[0,0,1]
	;; [unrolled: 1-line block ×4, first 2 shown]
	v_cvt_pk_fp8_f32 v139, v166, v177
	v_mov_b32_e32 v147, 0
	v_cvt_pk_fp8_f32 v140, v178, v167
	v_cvt_pk_fp8_f32 v146, v199, v200
	v_ashrrev_i32_e32 v141, 16, v129
	v_ashrrev_i32_e32 v142, 8, v129
	;; [unrolled: 1-line block ×3, first 2 shown]
	;;#ASMSTART
	v_cvt_off_f32_i4 v150, v141
	;;#ASMEND
	v_ashrrev_i32_e32 v141, 20, v129
	v_ashrrev_i32_e32 v144, 4, v129
	;;#ASMSTART
	v_cvt_off_f32_i4 v151, v142
	;;#ASMEND
	;;#ASMSTART
	v_cvt_off_f32_i4 v152, v143
	;;#ASMEND
	;; [unrolled: 3-line block ×3, first 2 shown]
	v_ashrrev_i32_e32 v142, 12, v129
	v_ashrrev_i32_e32 v129, 28, v129
	;;#ASMSTART
	v_cvt_off_f32_i4 v155, v141
	;;#ASMEND
	v_ashrrev_i32_e32 v141, 16, v130
	v_ashrrev_i32_e32 v143, 8, v130
	;;#ASMSTART
	v_cvt_off_f32_i4 v156, v142
	;;#ASMEND
	;;#ASMSTART
	v_cvt_off_f32_i4 v157, v129
	;;#ASMEND
	;; [unrolled: 3-line block ×5, first 2 shown]
	v_ashrrev_i32_e32 v129, 24, v130
	v_ashrrev_i32_e32 v141, 4, v130
	;; [unrolled: 1-line block ×5, first 2 shown]
	;;#ASMSTART
	v_cvt_off_f32_i4 v161, v129
	;;#ASMEND
	;;#ASMSTART
	v_cvt_off_f32_i4 v162, v141
	;;#ASMEND
	;; [unrolled: 3-line block ×5, first 2 shown]
	ds_load_b64 v[129:130], v174 offset:16384
	v_dual_mov_b32 v142, 0 :: v_dual_mov_b32 v143, 0
	v_mov_b32_e32 v141, 0
	v_cvt_pk_fp8_f32 v139, v168, v179 op_sel:[0,0,1]
	s_wait_dscnt 0x0
	;;#ASMSTART
	v_cvt_off_f32_i4 v167, v129
	;;#ASMEND
	v_cvt_pk_fp8_f32 v142, v180, v186
	v_cvt_pk_fp8_f32 v147, v149, v150
	v_mov_b32_e32 v150, 0
	v_cvt_pk_fp8_f32 v143, v176, v190
	v_cvt_pk_fp8_f32 v140, v181, v182 op_sel:[0,0,1]
	v_cvt_pk_fp8_f32 v141, v183, v184
	v_cvt_pk_fp8_f32 v142, v185, v189 op_sel:[0,0,1]
	v_mov_b32_e32 v149, 0
	v_cvt_pk_fp8_f32 v147, v154, v155 op_sel:[0,0,1]
	v_dual_mov_b32 v154, 0 :: v_dual_mov_b32 v155, 0
	v_mov_b32_e32 v144, 0
	s_delay_alu instid0(VALU_DEP_4)
	v_cvt_pk_fp8_f32 v149, v158, v159
	v_cvt_pk_fp8_f32 v150, v160, v161
	v_ashrrev_i32_e32 v148, 16, v129
	v_ashrrev_i32_e32 v166, 8, v129
	;; [unrolled: 1-line block ×4, first 2 shown]
	;;#ASMSTART
	v_cvt_off_f32_i4 v175, v148
	;;#ASMEND
	v_ashrrev_i32_e32 v148, 20, v129
	;;#ASMSTART
	v_cvt_off_f32_i4 v166, v166
	;;#ASMEND
	;;#ASMSTART
	v_cvt_off_f32_i4 v168, v168
	;;#ASMEND
	;; [unrolled: 3-line block ×3, first 2 shown]
	v_ashrrev_i32_e32 v176, 12, v129
	v_ashrrev_i32_e32 v129, 28, v129
	;;#ASMSTART
	v_cvt_off_f32_i4 v177, v148
	;;#ASMEND
	v_ashrrev_i32_e32 v148, 16, v130
	v_ashrrev_i32_e32 v178, 8, v130
	;;#ASMSTART
	v_cvt_off_f32_i4 v176, v176
	;;#ASMEND
	;;#ASMSTART
	v_cvt_off_f32_i4 v179, v129
	;;#ASMEND
	;; [unrolled: 3-line block ×4, first 2 shown]
	v_ashrrev_i32_e32 v129, 24, v130
	v_ashrrev_i32_e32 v148, 4, v130
	;; [unrolled: 1-line block ×5, first 2 shown]
	;;#ASMSTART
	v_cvt_off_f32_i4 v178, v178
	;;#ASMEND
	;;#ASMSTART
	v_cvt_off_f32_i4 v184, v129
	;;#ASMEND
	;; [unrolled: 3-line block ×6, first 2 shown]
	ds_load_b64 v[129:130], v173 offset:16384
	v_mov_b32_e32 v148, 0
	v_cvt_pk_fp8_f32 v149, v162, v163 op_sel:[0,0,1]
	v_cvt_pk_fp8_f32 v154, v167, v175
	v_cvt_pk_fp8_f32 v155, v166, v168
	s_wait_dscnt 0x0
	;;#ASMSTART
	v_cvt_off_f32_i4 v162, v129
	;;#ASMEND
	v_cvt_pk_fp8_f32 v148, v151, v152
	v_cvt_pk_fp8_f32 v141, v187, v188 op_sel:[0,0,1]
	v_cvt_pk_fp8_f32 v144, v191, v192
	v_cvt_pk_fp8_f32 v143, v193, v194 op_sel:[0,0,1]
	v_cvt_pk_fp8_f32 v150, v164, v165 op_sel:[0,0,1]
	;; [unrolled: 1-line block ×3, first 2 shown]
	v_dual_mov_b32 v157, 0 :: v_dual_mov_b32 v156, 0
	v_mov_b32_e32 v161, 0
	v_cvt_pk_fp8_f32 v145, v197, v198
	v_cvt_pk_fp8_f32 v144, v195, v196 op_sel:[0,0,1]
	v_cvt_pk_fp8_f32 v146, v203, v204 op_sel:[0,0,1]
	v_cvt_pk_fp8_f32 v156, v180, v181
	v_cvt_pk_fp8_f32 v154, v174, v177 op_sel:[0,0,1]
	v_ashrrev_i32_e32 v151, 16, v129
	v_ashrrev_i32_e32 v152, 8, v129
	;; [unrolled: 1-line block ×5, first 2 shown]
	;;#ASMSTART
	v_cvt_off_f32_i4 v151, v151
	;;#ASMEND
	;;#ASMSTART
	v_cvt_off_f32_i4 v152, v152
	;;#ASMEND
	;; [unrolled: 3-line block ×4, first 2 shown]
	v_ashrrev_i32_e32 v158, 12, v129
	v_ashrrev_i32_e32 v129, 28, v129
	;;#ASMSTART
	v_cvt_off_f32_i4 v167, v160
	;;#ASMEND
	v_ashrrev_i32_e32 v159, 16, v130
	v_ashrrev_i32_e32 v160, 8, v130
	;;#ASMSTART
	v_cvt_off_f32_i4 v168, v158
	;;#ASMEND
	;;#ASMSTART
	v_cvt_off_f32_i4 v173, v129
	;;#ASMEND
	;; [unrolled: 3-line block ×5, first 2 shown]
	v_ashrrev_i32_e32 v129, 24, v130
	v_ashrrev_i32_e32 v158, 4, v130
	;; [unrolled: 1-line block ×5, first 2 shown]
	;;#ASMSTART
	v_cvt_off_f32_i4 v189, v129
	;;#ASMEND
	;;#ASMSTART
	v_cvt_off_f32_i4 v190, v158
	;;#ASMEND
	;; [unrolled: 3-line block ×5, first 2 shown]
	ds_load_b64 v[129:130], v172 offset:16384
	v_dual_mov_b32 v158, 0 :: v_dual_mov_b32 v159, 0
	v_mov_b32_e32 v160, 0
	v_cvt_pk_fp8_f32 v161, v188, v189
	v_cvt_pk_fp8_f32 v145, v201, v202 op_sel:[0,0,1]
	s_delay_alu instid0(VALU_DEP_4)
	v_cvt_pk_fp8_f32 v158, v162, v151
	v_mov_b32_e32 v162, 0
	v_cvt_pk_fp8_f32 v159, v152, v163
	v_mov_b32_e32 v163, 0
	s_wait_dscnt 0x0
	;;#ASMSTART
	v_cvt_off_f32_i4 v152, v129
	;;#ASMEND
	v_cvt_pk_fp8_f32 v157, v178, v184
	v_cvt_pk_fp8_f32 v160, v175, v187
	v_cvt_pk_fp8_f32 v155, v176, v179 op_sel:[0,0,1]
	v_cvt_pk_fp8_f32 v156, v185, v182 op_sel:[0,0,1]
	;; [unrolled: 1-line block ×7, first 2 shown]
	v_ashrrev_i32_e32 v151, 16, v129
	;;#ASMSTART
	v_cvt_off_f32_i4 v151, v151
	;;#ASMEND
	s_delay_alu instid0(VALU_DEP_1)
	v_cvt_pk_fp8_f32 v162, v152, v151
	v_ashrrev_i32_e32 v164, 8, v129
	v_ashrrev_i32_e32 v165, 24, v129
	;;#ASMSTART
	v_cvt_off_f32_i4 v151, v164
	;;#ASMEND
	;;#ASMSTART
	v_cvt_off_f32_i4 v152, v165
	;;#ASMEND
	v_cvt_pk_fp8_f32 v163, v151, v152
	v_ashrrev_i32_e32 v164, 4, v129
	;;#ASMSTART
	v_cvt_off_f32_i4 v152, v164
	;;#ASMEND
	v_ashrrev_i32_e32 v165, 20, v129
	;;#ASMSTART
	v_cvt_off_f32_i4 v164, v165
	;;#ASMEND
	s_delay_alu instid0(VALU_DEP_2)
	v_cvt_pk_fp8_f32 v162, v152, v164 op_sel:[0,0,1]
	v_mov_b32_e32 v152, 0
	v_ashrrev_i32_e32 v151, 12, v129
	v_ashrrev_i32_e32 v129, 28, v129
	;;#ASMSTART
	v_cvt_off_f32_i4 v151, v151
	;;#ASMEND
	;;#ASMSTART
	v_cvt_off_f32_i4 v129, v129
	;;#ASMEND
	s_delay_alu instid0(VALU_DEP_1)
	v_cvt_pk_fp8_f32 v163, v151, v129 op_sel:[0,0,1]
	v_ashrrev_i32_e32 v129, 16, v130
	v_ashrrev_i32_e32 v151, 8, v130
	;;#ASMSTART
	v_cvt_off_f32_i4 v165, v130
	;;#ASMEND
	;;#ASMSTART
	v_cvt_off_f32_i4 v129, v129
	;;#ASMEND
	v_ashrrev_i32_e32 v164, 24, v130
	v_cvt_pk_fp8_f32 v152, v165, v129
	;;#ASMSTART
	v_cvt_off_f32_i4 v129, v151
	;;#ASMEND
	;;#ASMSTART
	v_cvt_off_f32_i4 v151, v164
	;;#ASMEND
	v_cvt_pk_fp8_f32 v153, v129, v151
	v_ashrrev_i32_e32 v164, 4, v130
	v_ashrrev_i32_e32 v165, 20, v130
	v_ashrrev_i32_e32 v129, 12, v130
	v_ashrrev_i32_e32 v130, 28, v130
	;;#ASMSTART
	v_cvt_off_f32_i4 v151, v164
	;;#ASMEND
	;;#ASMSTART
	v_cvt_off_f32_i4 v164, v165
	;;#ASMEND
	v_cvt_pk_fp8_f32 v152, v151, v164 op_sel:[0,0,1]
	;;#ASMSTART
	v_cvt_off_f32_i4 v129, v129
	;;#ASMEND
	;;#ASMSTART
	v_cvt_off_f32_i4 v130, v130
	;;#ASMEND
	v_cvt_pk_fp8_f32 v153, v129, v130 op_sel:[0,0,1]
	; sched_barrier mask(0x00000000)
	s_barrier_signal -1
	s_barrier_wait -1
	; sched_barrier mask(0x00000000)
	v_wmma_f32_16x16x16_fp8_fp8 v[57:64], v[131:132], v[121:122], v[57:64]
	s_delay_alu instid0(VALU_DEP_1)
	v_wmma_f32_16x16x16_fp8_fp8 v[57:64], v[133:134], v[123:124], v[57:64]
	; sched_barrier mask(0x00000000)
	s_setprio 1
	; sched_barrier mask(0x00000000)
	v_wmma_f32_16x16x16_fp8_fp8 v[49:56], v[147:148], v[121:122], v[49:56]
	v_wmma_f32_16x16x16_fp8_fp8 v[33:40], v[131:132], v[117:118], v[33:40]
	;; [unrolled: 1-line block ×60, first 2 shown]
	; sched_barrier mask(0x00000000)
	s_wait_dscnt 0x0
	s_barrier_signal -1
	s_barrier_wait -1
	; sched_barrier mask(0x00000000)
	v_wmma_f32_16x16x16_fp8_fp8 v[1:8], v[162:163], v[65:66], v[1:8]
	s_delay_alu instid0(VALU_DEP_1)
	v_wmma_f32_16x16x16_fp8_fp8 v[1:8], v[152:153], v[67:68], v[1:8]
	; sched_barrier mask(0x00000000)
	s_setprio 0
	; sched_barrier mask(0x00000000)
	v_lshlrev_b32_e32 v0, 3, v0
	v_and_b32_e32 v65, 56, v169
	v_lshl_or_b32 v66, s19, 7, v170
	v_cvt_f16_f32_e32 v69, v60
	v_cvt_f16_f32_e32 v63, v63
	v_and_b32_e32 v68, 56, v0
	v_lshlrev_b32_e32 v60, 1, v65
	v_cvt_f16_f32_e32 v64, v64
	v_cvt_f16_f32_e32 v67, v59
	;; [unrolled: 1-line block ×3, first 2 shown]
	v_or_b32_e32 v0, s6, v68
	v_cvt_f16_f32_e32 v65, v62
	v_cvt_f16_f32_e32 v57, v57
	v_lshl_or_b32 v70, v171, 7, v60
	v_pack_b32_f16 v60, v63, v64
	v_mad_co_u64_u32 v[61:62], null, v66, s17, v[0:1]
	v_cvt_f16_f32_e32 v62, v58
	v_lshlrev_b32_e32 v63, 1, v68
	v_pack_b32_f16 v59, v59, v65
	v_pack_b32_f16 v58, v67, v69
	s_wait_dscnt 0x0
	v_pack_b32_f16 v57, v57, v62
	v_lshl_or_b32 v62, v170, 7, v63
	s_barrier_signal -1
	s_barrier_wait -1
	v_cmp_gt_i32_e32 vcc_lo, s5, v0
	ds_store_b128 v70, v[57:60]
	s_wait_dscnt 0x0
	s_barrier_signal -1
	s_barrier_wait -1
	ds_load_b64 v[57:58], v62
	v_cmp_gt_i32_e64 s3, s4, v66
	v_lshlrev_b32_e32 v59, 1, v61
	s_mov_b32 s11, 0x31004000
	v_cvt_f16_f32_e32 v49, v49
	v_cvt_f16_f32_e32 v54, v54
	s_and_b32 s0, s3, vcc_lo
	v_cvt_f16_f32_e32 v63, v52
	v_cndmask_b32_e64 v60, 0x80000000, 0, s0
	s_add_co_i32 s0, s5, s1
	v_cvt_f16_f32_e32 v64, v50
	s_wait_alu 0xfffe
	s_lshl_b32 s10, s0, 1
	v_cvt_f16_f32_e32 v41, v41
	v_add_nc_u32_e32 v60, v60, v59
	v_cvt_f16_f32_e32 v48, v48
	s_wait_dscnt 0x0
	s_clause 0x1
	buffer_atomic_pk_add_f16 v57, v60, s[8:11], null offen
	buffer_atomic_pk_add_f16 v58, v60, s[8:11], s7 offen
	v_or_b32_e32 v60, 4, v0
	ds_load_b64 v[57:58], v62 offset:8
	v_pack_b32_f16 v49, v49, v64
	v_cvt_f16_f32_e32 v46, v46
	v_cvt_f16_f32_e32 v40, v40
	v_cmp_gt_i32_e64 s0, s5, v60
	v_cvt_f16_f32_e32 v60, v51
	v_cvt_f16_f32_e32 v51, v53
	;; [unrolled: 1-line block ×4, first 2 shown]
	s_and_b32 s1, s3, s0
	v_pack_b32_f16 v50, v60, v63
	s_wait_alu 0xfffe
	v_cndmask_b32_e64 v56, 0x80000000, 0, s1
	v_pack_b32_f16 v51, v51, v54
	v_pack_b32_f16 v52, v53, v55
	v_or_b32_e32 v54, 64, v0
	v_or_b32_e32 v0, 0x44, v0
	v_add_nc_u32_e32 v53, v59, v56
	s_wait_dscnt 0x0
	s_clause 0x1
	buffer_atomic_pk_add_f16 v57, v53, s[8:11], null offen offset:8
	buffer_atomic_pk_add_f16 v58, v53, s[8:11], s7 offen offset:8
	s_wait_dscnt 0x0
	s_barrier_signal -1
	s_barrier_wait -1
	ds_store_b128 v70, v[49:52]
	s_wait_dscnt 0x0
	s_barrier_signal -1
	s_barrier_wait -1
	ds_load_b64 v[49:50], v62
	v_cmp_gt_i32_e64 s1, s5, v54
	v_add_nc_u32_e32 v51, 64, v61
	v_or_b32_e32 v53, 32, v66
	v_cvt_f16_f32_e32 v38, v38
	v_cvt_f16_f32_e32 v25, v25
	s_and_b32 s2, s3, s1
	v_cvt_f16_f32_e32 v32, v32
	v_cndmask_b32_e64 v52, 0x80000000, 0, s2
	v_cmp_gt_i32_e64 s2, s5, v0
	v_cvt_f16_f32_e32 v0, v42
	v_cvt_f16_f32_e32 v42, v43
	;; [unrolled: 1-line block ×3, first 2 shown]
	v_lshl_add_u32 v52, v51, 1, v52
	s_wait_dscnt 0x0
	s_clause 0x1
	buffer_atomic_pk_add_f16 v49, v52, s[8:11], null offen
	buffer_atomic_pk_add_f16 v50, v52, s[8:11], s7 offen
	ds_load_b64 v[49:50], v62 offset:8
	s_and_b32 s3, s3, s2
	v_cvt_f16_f32_e32 v45, v47
	s_wait_alu 0xfffe
	v_cndmask_b32_e64 v47, 0x80000000, 0, s3
	v_cvt_f16_f32_e32 v52, v44
	v_pack_b32_f16 v43, v43, v46
	v_pack_b32_f16 v41, v41, v0
	;; [unrolled: 1-line block ×3, first 2 shown]
	v_add_nc_u32_e32 v47, v59, v47
	v_pack_b32_f16 v42, v42, v52
	s_wait_dscnt 0x0
	s_clause 0x1
	buffer_atomic_pk_add_f16 v49, v47, s[8:11], null offen offset:136
	buffer_atomic_pk_add_f16 v50, v47, s[8:11], s7 offen offset:136
	s_wait_dscnt 0x0
	s_barrier_signal -1
	s_barrier_wait -1
	ds_store_b128 v70, v[41:44]
	s_wait_dscnt 0x0
	s_barrier_signal -1
	s_barrier_wait -1
	ds_load_b64 v[41:42], v62
	v_cmp_gt_i32_e64 s3, s4, v53
	s_lshl_b32 s5, s17, 5
	v_cvt_f16_f32_e32 v44, v36
	s_wait_alu 0xfffe
	v_add_lshl_u32 v43, v51, s5, 1
	v_cvt_f16_f32_e32 v45, v34
	s_and_b32 s6, s3, s1
	v_cvt_f16_f32_e32 v30, v30
	s_wait_alu 0xfffe
	v_cndmask_b32_e64 v0, 0x80000000, 0, s6
	s_and_b32 s6, s3, s2
	v_cvt_f16_f32_e32 v24, v24
	v_cvt_f16_f32_e32 v22, v22
	;; [unrolled: 1-line block ×3, first 2 shown]
	v_add_nc_u32_e32 v0, v43, v0
	s_wait_dscnt 0x0
	s_clause 0x1
	buffer_atomic_pk_add_f16 v41, v0, s[8:11], null offen
	buffer_atomic_pk_add_f16 v42, v0, s[8:11], s7 offen
	ds_load_b64 v[41:42], v62 offset:8
	v_cvt_f16_f32_e32 v0, v33
	v_cvt_f16_f32_e32 v33, v35
	;; [unrolled: 1-line block ×4, first 2 shown]
	v_cndmask_b32_e64 v39, 0x80000008, 8, s6
	s_and_b32 s6, vcc_lo, s3
	v_pack_b32_f16 v34, v33, v44
	v_pack_b32_f16 v35, v35, v38
	;; [unrolled: 1-line block ×3, first 2 shown]
	v_add_nc_u32_e32 v39, v43, v39
	v_pack_b32_f16 v33, v0, v45
	s_wait_dscnt 0x0
	s_clause 0x1
	buffer_atomic_pk_add_f16 v41, v39, s[8:11], null offen
	buffer_atomic_pk_add_f16 v42, v39, s[8:11], s7 offen
	s_wait_dscnt 0x0
	s_barrier_signal -1
	s_barrier_wait -1
	ds_store_b128 v70, v[33:36]
	s_wait_dscnt 0x0
	s_barrier_signal -1
	s_barrier_wait -1
	ds_load_b64 v[33:34], v62
	v_add_nc_u32_e32 v0, s5, v61
	v_cndmask_b32_e64 v35, 0x80000000, 0, s6
	s_and_b32 s3, s3, s0
	v_cvt_f16_f32_e32 v37, v28
	v_or_b32_e32 v38, 64, v66
	v_lshlrev_b32_e32 v36, 1, v0
	v_cvt_f16_f32_e32 v4, v4
	v_cvt_f16_f32_e32 v10, v10
	s_delay_alu instid0(VALU_DEP_3)
	v_add_nc_u32_e32 v35, v35, v36
	s_wait_dscnt 0x0
	s_clause 0x1
	buffer_atomic_pk_add_f16 v33, v35, s[8:11], null offen
	buffer_atomic_pk_add_f16 v34, v35, s[8:11], s7 offen
	ds_load_b64 v[33:34], v62 offset:8
	v_cvt_f16_f32_e32 v35, v26
	v_cvt_f16_f32_e32 v26, v27
	v_cvt_f16_f32_e32 v27, v29
	v_cvt_f16_f32_e32 v29, v31
	v_cndmask_b32_e64 v31, 0x80000000, 0, s3
	v_pack_b32_f16 v25, v25, v35
	v_pack_b32_f16 v26, v26, v37
	;; [unrolled: 1-line block ×4, first 2 shown]
	v_add_nc_u32_e32 v31, v36, v31
	s_wait_dscnt 0x0
	s_clause 0x1
	buffer_atomic_pk_add_f16 v33, v31, s[8:11], null offen offset:8
	buffer_atomic_pk_add_f16 v34, v31, s[8:11], s7 offen offset:8
	s_wait_dscnt 0x0
	s_barrier_signal -1
	s_barrier_wait -1
	ds_store_b128 v70, v[25:28]
	s_wait_dscnt 0x0
	s_barrier_signal -1
	s_barrier_wait -1
	ds_load_b64 v[25:26], v62
	v_cmp_gt_i32_e64 s3, s4, v38
	v_add_nc_u32_e32 v27, s5, v0
	v_cvt_f16_f32_e32 v29, v20
	v_cvt_f16_f32_e32 v30, v18
	s_and_b32 s6, vcc_lo, s3
	s_delay_alu instid0(VALU_DEP_3) | instskip(SKIP_3) | instid1(VALU_DEP_1)
	v_lshlrev_b32_e32 v28, 1, v27
	s_wait_alu 0xfffe
	v_cndmask_b32_e64 v0, 0x80000000, 0, s6
	s_and_b32 s6, s3, s0
	v_add_nc_u32_e32 v0, v28, v0
	s_wait_dscnt 0x0
	s_clause 0x1
	buffer_atomic_pk_add_f16 v25, v0, s[8:11], null offen
	buffer_atomic_pk_add_f16 v26, v0, s[8:11], s7 offen
	ds_load_b64 v[25:26], v62 offset:8
	v_cvt_f16_f32_e32 v0, v17
	v_cvt_f16_f32_e32 v17, v19
	;; [unrolled: 1-line block ×4, first 2 shown]
	v_cndmask_b32_e64 v23, 0x80000008, 8, s6
	s_and_b32 s6, s3, s1
	v_pack_b32_f16 v18, v17, v29
	v_pack_b32_f16 v19, v19, v22
	;; [unrolled: 1-line block ×3, first 2 shown]
	v_add_nc_u32_e32 v23, v28, v23
	v_pack_b32_f16 v17, v0, v30
	s_wait_dscnt 0x0
	s_clause 0x1
	buffer_atomic_pk_add_f16 v25, v23, s[8:11], null offen
	buffer_atomic_pk_add_f16 v26, v23, s[8:11], s7 offen
	s_wait_dscnt 0x0
	s_barrier_signal -1
	s_barrier_wait -1
	ds_store_b128 v70, v[17:20]
	s_wait_dscnt 0x0
	s_barrier_signal -1
	s_barrier_wait -1
	ds_load_b64 v[17:18], v62
	v_cndmask_b32_e64 v0, 0x80000000, 0, s6
	v_add_nc_u32_e32 v19, 64, v27
	s_and_b32 s3, s3, s2
	v_cvt_f16_f32_e32 v20, v1
	v_cvt_f16_f32_e32 v21, v2
	;; [unrolled: 1-line block ×3, first 2 shown]
	v_lshl_add_u32 v0, v19, 1, v0
	s_wait_dscnt 0x0
	s_clause 0x1
	buffer_atomic_pk_add_f16 v17, v0, s[8:11], null offen
	buffer_atomic_pk_add_f16 v18, v0, s[8:11], s7 offen
	ds_load_b64 v[17:18], v62 offset:8
	v_mov_b32_e32 v0, 0x88
	v_cvt_f16_f32_e32 v2, v5
	v_cvt_f16_f32_e32 v3, v7
	;; [unrolled: 1-line block ×3, first 2 shown]
	v_pack_b32_f16 v1, v1, v4
	v_cndmask_b32_e64 v0, 0x80000088, v0, s3
	v_pack_b32_f16 v2, v2, v6
	v_or_b32_e32 v7, 0x60, v66
	v_pack_b32_f16 v3, v3, v5
	v_cvt_f16_f32_e32 v6, v15
	v_add_nc_u32_e32 v8, v28, v0
	v_pack_b32_f16 v0, v20, v21
	s_wait_dscnt 0x0
	s_clause 0x1
	buffer_atomic_pk_add_f16 v17, v8, s[8:11], null offen
	buffer_atomic_pk_add_f16 v18, v8, s[8:11], s7 offen
	s_wait_dscnt 0x0
	s_barrier_signal -1
	s_barrier_wait -1
	ds_store_b128 v70, v[0:3]
	s_wait_dscnt 0x0
	s_barrier_signal -1
	s_barrier_wait -1
	ds_load_b64 v[0:1], v62
	v_cmp_gt_i32_e64 s3, s4, v7
	v_add_lshl_u32 v3, v19, s5, 1
	v_cvt_f16_f32_e32 v8, v16
	s_and_b32 s1, s3, s1
	s_and_b32 s0, s3, s0
	s_wait_alu 0xfffe
	v_cndmask_b32_e64 v2, 0x80000000, 0, s1
	s_and_b32 s1, s3, s2
	s_wait_alu 0xfffe
	v_cndmask_b32_e64 v7, 0x80000008, 8, s1
	s_and_b32 s1, vcc_lo, s3
	v_add_nc_u32_e32 v2, v3, v2
	s_wait_dscnt 0x0
	s_clause 0x1
	buffer_atomic_pk_add_f16 v0, v2, s[8:11], null offen
	buffer_atomic_pk_add_f16 v1, v2, s[8:11], s7 offen
	ds_load_b64 v[4:5], v62 offset:8
	v_cvt_f16_f32_e32 v0, v9
	v_cvt_f16_f32_e32 v1, v11
	;; [unrolled: 1-line block ×5, first 2 shown]
	v_add_nc_u32_e32 v7, v3, v7
	v_pack_b32_f16 v3, v6, v8
	v_pack_b32_f16 v0, v0, v10
	;; [unrolled: 1-line block ×4, first 2 shown]
	s_wait_dscnt 0x0
	s_clause 0x1
	buffer_atomic_pk_add_f16 v4, v7, s[8:11], null offen
	buffer_atomic_pk_add_f16 v5, v7, s[8:11], s7 offen
	s_wait_dscnt 0x0
	s_barrier_signal -1
	s_barrier_wait -1
	ds_store_b128 v70, v[0:3]
	s_wait_dscnt 0x0
	s_barrier_signal -1
	s_barrier_wait -1
	ds_load_b64 v[0:1], v62
	v_add_lshl_u32 v2, v27, s5, 1
	v_cndmask_b32_e64 v3, 0x80000000, 0, s1
	s_delay_alu instid0(VALU_DEP_1)
	v_add_nc_u32_e32 v3, v2, v3
	s_wait_dscnt 0x0
	s_clause 0x1
	buffer_atomic_pk_add_f16 v0, v3, s[8:11], null offen
	buffer_atomic_pk_add_f16 v1, v3, s[8:11], s7 offen
	ds_load_b64 v[0:1], v62 offset:8
	v_cndmask_b32_e64 v3, 0x80000008, 8, s0
	s_delay_alu instid0(VALU_DEP_1)
	v_add_nc_u32_e32 v2, v2, v3
	s_wait_dscnt 0x0
	s_clause 0x1
	buffer_atomic_pk_add_f16 v0, v2, s[8:11], null offen
	buffer_atomic_pk_add_f16 v1, v2, s[8:11], s7 offen
	s_nop 0
	s_sendmsg sendmsg(MSG_DEALLOC_VGPRS)
	s_endpgm
	.section	.rodata,"a",@progbits
	.p2align	6, 0x0
	.amdhsa_kernel _ZN2ck27kernel_gemm_xdl_cshuffle_v3INS_28GridwiseGemm_xdl_cshuffle_v3INS_13tensor_layout4gemm8RowMajorENS3_11ColumnMajorES4_NS_9f8_fnuz_tENS_7pk_i4_tEfDF16_DF16_NS_16tensor_operation12element_wise11PassThroughESA_SA_LNS8_6device18GemmSpecializationE0ELi256ELi128ELi128ELi128ELi16ELi16ELi16ELi16ELi4ELi2ENS_8SequenceIJLi8ELi32ELi1EEEENSD_IJLi1ELi0ELi2EEEESF_Li2ELi16ELi16ELb0ELi0ENSD_IJLi4ELi64ELi1EEEESF_SF_Li2ELi16ELi16ELb0ELi0ELi1ELi1ENSD_IJLi1ELi32ELi1ELi8EEEELi4ELNS_26BlockGemmPipelineSchedulerE1ELNS_24BlockGemmPipelineVersionE1ES6_S6_Lb0ELb1ELb0ELi0ELb0EEELb1ELNS_25InMemoryDataOperationEnumE1ELi2ELNS_10TailNumberE10EEEvNT_8ArgumentE
		.amdhsa_group_segment_fixed_size 24576
		.amdhsa_private_segment_fixed_size 0
		.amdhsa_kernarg_size 112
		.amdhsa_user_sgpr_count 2
		.amdhsa_user_sgpr_dispatch_ptr 0
		.amdhsa_user_sgpr_queue_ptr 0
		.amdhsa_user_sgpr_kernarg_segment_ptr 1
		.amdhsa_user_sgpr_dispatch_id 0
		.amdhsa_user_sgpr_private_segment_size 0
		.amdhsa_wavefront_size32 1
		.amdhsa_uses_dynamic_stack 0
		.amdhsa_enable_private_segment 0
		.amdhsa_system_sgpr_workgroup_id_x 1
		.amdhsa_system_sgpr_workgroup_id_y 0
		.amdhsa_system_sgpr_workgroup_id_z 1
		.amdhsa_system_sgpr_workgroup_info 0
		.amdhsa_system_vgpr_workitem_id 0
		.amdhsa_next_free_vgpr 245
		.amdhsa_next_free_sgpr 30
		.amdhsa_reserve_vcc 1
		.amdhsa_float_round_mode_32 0
		.amdhsa_float_round_mode_16_64 0
		.amdhsa_float_denorm_mode_32 3
		.amdhsa_float_denorm_mode_16_64 3
		.amdhsa_fp16_overflow 0
		.amdhsa_workgroup_processor_mode 1
		.amdhsa_memory_ordered 1
		.amdhsa_forward_progress 1
		.amdhsa_inst_pref_size 107
		.amdhsa_round_robin_scheduling 0
		.amdhsa_exception_fp_ieee_invalid_op 0
		.amdhsa_exception_fp_denorm_src 0
		.amdhsa_exception_fp_ieee_div_zero 0
		.amdhsa_exception_fp_ieee_overflow 0
		.amdhsa_exception_fp_ieee_underflow 0
		.amdhsa_exception_fp_ieee_inexact 0
		.amdhsa_exception_int_div_zero 0
	.end_amdhsa_kernel
	.section	.text._ZN2ck27kernel_gemm_xdl_cshuffle_v3INS_28GridwiseGemm_xdl_cshuffle_v3INS_13tensor_layout4gemm8RowMajorENS3_11ColumnMajorES4_NS_9f8_fnuz_tENS_7pk_i4_tEfDF16_DF16_NS_16tensor_operation12element_wise11PassThroughESA_SA_LNS8_6device18GemmSpecializationE0ELi256ELi128ELi128ELi128ELi16ELi16ELi16ELi16ELi4ELi2ENS_8SequenceIJLi8ELi32ELi1EEEENSD_IJLi1ELi0ELi2EEEESF_Li2ELi16ELi16ELb0ELi0ENSD_IJLi4ELi64ELi1EEEESF_SF_Li2ELi16ELi16ELb0ELi0ELi1ELi1ENSD_IJLi1ELi32ELi1ELi8EEEELi4ELNS_26BlockGemmPipelineSchedulerE1ELNS_24BlockGemmPipelineVersionE1ES6_S6_Lb0ELb1ELb0ELi0ELb0EEELb1ELNS_25InMemoryDataOperationEnumE1ELi2ELNS_10TailNumberE10EEEvNT_8ArgumentE,"axG",@progbits,_ZN2ck27kernel_gemm_xdl_cshuffle_v3INS_28GridwiseGemm_xdl_cshuffle_v3INS_13tensor_layout4gemm8RowMajorENS3_11ColumnMajorES4_NS_9f8_fnuz_tENS_7pk_i4_tEfDF16_DF16_NS_16tensor_operation12element_wise11PassThroughESA_SA_LNS8_6device18GemmSpecializationE0ELi256ELi128ELi128ELi128ELi16ELi16ELi16ELi16ELi4ELi2ENS_8SequenceIJLi8ELi32ELi1EEEENSD_IJLi1ELi0ELi2EEEESF_Li2ELi16ELi16ELb0ELi0ENSD_IJLi4ELi64ELi1EEEESF_SF_Li2ELi16ELi16ELb0ELi0ELi1ELi1ENSD_IJLi1ELi32ELi1ELi8EEEELi4ELNS_26BlockGemmPipelineSchedulerE1ELNS_24BlockGemmPipelineVersionE1ES6_S6_Lb0ELb1ELb0ELi0ELb0EEELb1ELNS_25InMemoryDataOperationEnumE1ELi2ELNS_10TailNumberE10EEEvNT_8ArgumentE,comdat
.Lfunc_end6:
	.size	_ZN2ck27kernel_gemm_xdl_cshuffle_v3INS_28GridwiseGemm_xdl_cshuffle_v3INS_13tensor_layout4gemm8RowMajorENS3_11ColumnMajorES4_NS_9f8_fnuz_tENS_7pk_i4_tEfDF16_DF16_NS_16tensor_operation12element_wise11PassThroughESA_SA_LNS8_6device18GemmSpecializationE0ELi256ELi128ELi128ELi128ELi16ELi16ELi16ELi16ELi4ELi2ENS_8SequenceIJLi8ELi32ELi1EEEENSD_IJLi1ELi0ELi2EEEESF_Li2ELi16ELi16ELb0ELi0ENSD_IJLi4ELi64ELi1EEEESF_SF_Li2ELi16ELi16ELb0ELi0ELi1ELi1ENSD_IJLi1ELi32ELi1ELi8EEEELi4ELNS_26BlockGemmPipelineSchedulerE1ELNS_24BlockGemmPipelineVersionE1ES6_S6_Lb0ELb1ELb0ELi0ELb0EEELb1ELNS_25InMemoryDataOperationEnumE1ELi2ELNS_10TailNumberE10EEEvNT_8ArgumentE, .Lfunc_end6-_ZN2ck27kernel_gemm_xdl_cshuffle_v3INS_28GridwiseGemm_xdl_cshuffle_v3INS_13tensor_layout4gemm8RowMajorENS3_11ColumnMajorES4_NS_9f8_fnuz_tENS_7pk_i4_tEfDF16_DF16_NS_16tensor_operation12element_wise11PassThroughESA_SA_LNS8_6device18GemmSpecializationE0ELi256ELi128ELi128ELi128ELi16ELi16ELi16ELi16ELi4ELi2ENS_8SequenceIJLi8ELi32ELi1EEEENSD_IJLi1ELi0ELi2EEEESF_Li2ELi16ELi16ELb0ELi0ENSD_IJLi4ELi64ELi1EEEESF_SF_Li2ELi16ELi16ELb0ELi0ELi1ELi1ENSD_IJLi1ELi32ELi1ELi8EEEELi4ELNS_26BlockGemmPipelineSchedulerE1ELNS_24BlockGemmPipelineVersionE1ES6_S6_Lb0ELb1ELb0ELi0ELb0EEELb1ELNS_25InMemoryDataOperationEnumE1ELi2ELNS_10TailNumberE10EEEvNT_8ArgumentE
                                        ; -- End function
	.set _ZN2ck27kernel_gemm_xdl_cshuffle_v3INS_28GridwiseGemm_xdl_cshuffle_v3INS_13tensor_layout4gemm8RowMajorENS3_11ColumnMajorES4_NS_9f8_fnuz_tENS_7pk_i4_tEfDF16_DF16_NS_16tensor_operation12element_wise11PassThroughESA_SA_LNS8_6device18GemmSpecializationE0ELi256ELi128ELi128ELi128ELi16ELi16ELi16ELi16ELi4ELi2ENS_8SequenceIJLi8ELi32ELi1EEEENSD_IJLi1ELi0ELi2EEEESF_Li2ELi16ELi16ELb0ELi0ENSD_IJLi4ELi64ELi1EEEESF_SF_Li2ELi16ELi16ELb0ELi0ELi1ELi1ENSD_IJLi1ELi32ELi1ELi8EEEELi4ELNS_26BlockGemmPipelineSchedulerE1ELNS_24BlockGemmPipelineVersionE1ES6_S6_Lb0ELb1ELb0ELi0ELb0EEELb1ELNS_25InMemoryDataOperationEnumE1ELi2ELNS_10TailNumberE10EEEvNT_8ArgumentE.num_vgpr, 245
	.set _ZN2ck27kernel_gemm_xdl_cshuffle_v3INS_28GridwiseGemm_xdl_cshuffle_v3INS_13tensor_layout4gemm8RowMajorENS3_11ColumnMajorES4_NS_9f8_fnuz_tENS_7pk_i4_tEfDF16_DF16_NS_16tensor_operation12element_wise11PassThroughESA_SA_LNS8_6device18GemmSpecializationE0ELi256ELi128ELi128ELi128ELi16ELi16ELi16ELi16ELi4ELi2ENS_8SequenceIJLi8ELi32ELi1EEEENSD_IJLi1ELi0ELi2EEEESF_Li2ELi16ELi16ELb0ELi0ENSD_IJLi4ELi64ELi1EEEESF_SF_Li2ELi16ELi16ELb0ELi0ELi1ELi1ENSD_IJLi1ELi32ELi1ELi8EEEELi4ELNS_26BlockGemmPipelineSchedulerE1ELNS_24BlockGemmPipelineVersionE1ES6_S6_Lb0ELb1ELb0ELi0ELb0EEELb1ELNS_25InMemoryDataOperationEnumE1ELi2ELNS_10TailNumberE10EEEvNT_8ArgumentE.num_agpr, 0
	.set _ZN2ck27kernel_gemm_xdl_cshuffle_v3INS_28GridwiseGemm_xdl_cshuffle_v3INS_13tensor_layout4gemm8RowMajorENS3_11ColumnMajorES4_NS_9f8_fnuz_tENS_7pk_i4_tEfDF16_DF16_NS_16tensor_operation12element_wise11PassThroughESA_SA_LNS8_6device18GemmSpecializationE0ELi256ELi128ELi128ELi128ELi16ELi16ELi16ELi16ELi4ELi2ENS_8SequenceIJLi8ELi32ELi1EEEENSD_IJLi1ELi0ELi2EEEESF_Li2ELi16ELi16ELb0ELi0ENSD_IJLi4ELi64ELi1EEEESF_SF_Li2ELi16ELi16ELb0ELi0ELi1ELi1ENSD_IJLi1ELi32ELi1ELi8EEEELi4ELNS_26BlockGemmPipelineSchedulerE1ELNS_24BlockGemmPipelineVersionE1ES6_S6_Lb0ELb1ELb0ELi0ELb0EEELb1ELNS_25InMemoryDataOperationEnumE1ELi2ELNS_10TailNumberE10EEEvNT_8ArgumentE.numbered_sgpr, 30
	.set _ZN2ck27kernel_gemm_xdl_cshuffle_v3INS_28GridwiseGemm_xdl_cshuffle_v3INS_13tensor_layout4gemm8RowMajorENS3_11ColumnMajorES4_NS_9f8_fnuz_tENS_7pk_i4_tEfDF16_DF16_NS_16tensor_operation12element_wise11PassThroughESA_SA_LNS8_6device18GemmSpecializationE0ELi256ELi128ELi128ELi128ELi16ELi16ELi16ELi16ELi4ELi2ENS_8SequenceIJLi8ELi32ELi1EEEENSD_IJLi1ELi0ELi2EEEESF_Li2ELi16ELi16ELb0ELi0ENSD_IJLi4ELi64ELi1EEEESF_SF_Li2ELi16ELi16ELb0ELi0ELi1ELi1ENSD_IJLi1ELi32ELi1ELi8EEEELi4ELNS_26BlockGemmPipelineSchedulerE1ELNS_24BlockGemmPipelineVersionE1ES6_S6_Lb0ELb1ELb0ELi0ELb0EEELb1ELNS_25InMemoryDataOperationEnumE1ELi2ELNS_10TailNumberE10EEEvNT_8ArgumentE.num_named_barrier, 0
	.set _ZN2ck27kernel_gemm_xdl_cshuffle_v3INS_28GridwiseGemm_xdl_cshuffle_v3INS_13tensor_layout4gemm8RowMajorENS3_11ColumnMajorES4_NS_9f8_fnuz_tENS_7pk_i4_tEfDF16_DF16_NS_16tensor_operation12element_wise11PassThroughESA_SA_LNS8_6device18GemmSpecializationE0ELi256ELi128ELi128ELi128ELi16ELi16ELi16ELi16ELi4ELi2ENS_8SequenceIJLi8ELi32ELi1EEEENSD_IJLi1ELi0ELi2EEEESF_Li2ELi16ELi16ELb0ELi0ENSD_IJLi4ELi64ELi1EEEESF_SF_Li2ELi16ELi16ELb0ELi0ELi1ELi1ENSD_IJLi1ELi32ELi1ELi8EEEELi4ELNS_26BlockGemmPipelineSchedulerE1ELNS_24BlockGemmPipelineVersionE1ES6_S6_Lb0ELb1ELb0ELi0ELb0EEELb1ELNS_25InMemoryDataOperationEnumE1ELi2ELNS_10TailNumberE10EEEvNT_8ArgumentE.private_seg_size, 0
	.set _ZN2ck27kernel_gemm_xdl_cshuffle_v3INS_28GridwiseGemm_xdl_cshuffle_v3INS_13tensor_layout4gemm8RowMajorENS3_11ColumnMajorES4_NS_9f8_fnuz_tENS_7pk_i4_tEfDF16_DF16_NS_16tensor_operation12element_wise11PassThroughESA_SA_LNS8_6device18GemmSpecializationE0ELi256ELi128ELi128ELi128ELi16ELi16ELi16ELi16ELi4ELi2ENS_8SequenceIJLi8ELi32ELi1EEEENSD_IJLi1ELi0ELi2EEEESF_Li2ELi16ELi16ELb0ELi0ENSD_IJLi4ELi64ELi1EEEESF_SF_Li2ELi16ELi16ELb0ELi0ELi1ELi1ENSD_IJLi1ELi32ELi1ELi8EEEELi4ELNS_26BlockGemmPipelineSchedulerE1ELNS_24BlockGemmPipelineVersionE1ES6_S6_Lb0ELb1ELb0ELi0ELb0EEELb1ELNS_25InMemoryDataOperationEnumE1ELi2ELNS_10TailNumberE10EEEvNT_8ArgumentE.uses_vcc, 1
	.set _ZN2ck27kernel_gemm_xdl_cshuffle_v3INS_28GridwiseGemm_xdl_cshuffle_v3INS_13tensor_layout4gemm8RowMajorENS3_11ColumnMajorES4_NS_9f8_fnuz_tENS_7pk_i4_tEfDF16_DF16_NS_16tensor_operation12element_wise11PassThroughESA_SA_LNS8_6device18GemmSpecializationE0ELi256ELi128ELi128ELi128ELi16ELi16ELi16ELi16ELi4ELi2ENS_8SequenceIJLi8ELi32ELi1EEEENSD_IJLi1ELi0ELi2EEEESF_Li2ELi16ELi16ELb0ELi0ENSD_IJLi4ELi64ELi1EEEESF_SF_Li2ELi16ELi16ELb0ELi0ELi1ELi1ENSD_IJLi1ELi32ELi1ELi8EEEELi4ELNS_26BlockGemmPipelineSchedulerE1ELNS_24BlockGemmPipelineVersionE1ES6_S6_Lb0ELb1ELb0ELi0ELb0EEELb1ELNS_25InMemoryDataOperationEnumE1ELi2ELNS_10TailNumberE10EEEvNT_8ArgumentE.uses_flat_scratch, 0
	.set _ZN2ck27kernel_gemm_xdl_cshuffle_v3INS_28GridwiseGemm_xdl_cshuffle_v3INS_13tensor_layout4gemm8RowMajorENS3_11ColumnMajorES4_NS_9f8_fnuz_tENS_7pk_i4_tEfDF16_DF16_NS_16tensor_operation12element_wise11PassThroughESA_SA_LNS8_6device18GemmSpecializationE0ELi256ELi128ELi128ELi128ELi16ELi16ELi16ELi16ELi4ELi2ENS_8SequenceIJLi8ELi32ELi1EEEENSD_IJLi1ELi0ELi2EEEESF_Li2ELi16ELi16ELb0ELi0ENSD_IJLi4ELi64ELi1EEEESF_SF_Li2ELi16ELi16ELb0ELi0ELi1ELi1ENSD_IJLi1ELi32ELi1ELi8EEEELi4ELNS_26BlockGemmPipelineSchedulerE1ELNS_24BlockGemmPipelineVersionE1ES6_S6_Lb0ELb1ELb0ELi0ELb0EEELb1ELNS_25InMemoryDataOperationEnumE1ELi2ELNS_10TailNumberE10EEEvNT_8ArgumentE.has_dyn_sized_stack, 0
	.set _ZN2ck27kernel_gemm_xdl_cshuffle_v3INS_28GridwiseGemm_xdl_cshuffle_v3INS_13tensor_layout4gemm8RowMajorENS3_11ColumnMajorES4_NS_9f8_fnuz_tENS_7pk_i4_tEfDF16_DF16_NS_16tensor_operation12element_wise11PassThroughESA_SA_LNS8_6device18GemmSpecializationE0ELi256ELi128ELi128ELi128ELi16ELi16ELi16ELi16ELi4ELi2ENS_8SequenceIJLi8ELi32ELi1EEEENSD_IJLi1ELi0ELi2EEEESF_Li2ELi16ELi16ELb0ELi0ENSD_IJLi4ELi64ELi1EEEESF_SF_Li2ELi16ELi16ELb0ELi0ELi1ELi1ENSD_IJLi1ELi32ELi1ELi8EEEELi4ELNS_26BlockGemmPipelineSchedulerE1ELNS_24BlockGemmPipelineVersionE1ES6_S6_Lb0ELb1ELb0ELi0ELb0EEELb1ELNS_25InMemoryDataOperationEnumE1ELi2ELNS_10TailNumberE10EEEvNT_8ArgumentE.has_recursion, 0
	.set _ZN2ck27kernel_gemm_xdl_cshuffle_v3INS_28GridwiseGemm_xdl_cshuffle_v3INS_13tensor_layout4gemm8RowMajorENS3_11ColumnMajorES4_NS_9f8_fnuz_tENS_7pk_i4_tEfDF16_DF16_NS_16tensor_operation12element_wise11PassThroughESA_SA_LNS8_6device18GemmSpecializationE0ELi256ELi128ELi128ELi128ELi16ELi16ELi16ELi16ELi4ELi2ENS_8SequenceIJLi8ELi32ELi1EEEENSD_IJLi1ELi0ELi2EEEESF_Li2ELi16ELi16ELb0ELi0ENSD_IJLi4ELi64ELi1EEEESF_SF_Li2ELi16ELi16ELb0ELi0ELi1ELi1ENSD_IJLi1ELi32ELi1ELi8EEEELi4ELNS_26BlockGemmPipelineSchedulerE1ELNS_24BlockGemmPipelineVersionE1ES6_S6_Lb0ELb1ELb0ELi0ELb0EEELb1ELNS_25InMemoryDataOperationEnumE1ELi2ELNS_10TailNumberE10EEEvNT_8ArgumentE.has_indirect_call, 0
	.section	.AMDGPU.csdata,"",@progbits
; Kernel info:
; codeLenInByte = 13632
; TotalNumSgprs: 32
; NumVgprs: 245
; ScratchSize: 0
; MemoryBound: 0
; FloatMode: 240
; IeeeMode: 1
; LDSByteSize: 24576 bytes/workgroup (compile time only)
; SGPRBlocks: 0
; VGPRBlocks: 30
; NumSGPRsForWavesPerEU: 32
; NumVGPRsForWavesPerEU: 245
; Occupancy: 5
; WaveLimiterHint : 0
; COMPUTE_PGM_RSRC2:SCRATCH_EN: 0
; COMPUTE_PGM_RSRC2:USER_SGPR: 2
; COMPUTE_PGM_RSRC2:TRAP_HANDLER: 0
; COMPUTE_PGM_RSRC2:TGID_X_EN: 1
; COMPUTE_PGM_RSRC2:TGID_Y_EN: 0
; COMPUTE_PGM_RSRC2:TGID_Z_EN: 1
; COMPUTE_PGM_RSRC2:TIDIG_COMP_CNT: 0
	.section	.text._ZN2ck27kernel_gemm_xdl_cshuffle_v3INS_28GridwiseGemm_xdl_cshuffle_v3INS_13tensor_layout4gemm8RowMajorENS3_11ColumnMajorES4_NS_9f8_fnuz_tENS_7pk_i4_tEfDF16_DF16_NS_16tensor_operation12element_wise11PassThroughESA_SA_LNS8_6device18GemmSpecializationE0ELi256ELi128ELi128ELi128ELi16ELi16ELi16ELi16ELi4ELi2ENS_8SequenceIJLi8ELi32ELi1EEEENSD_IJLi1ELi0ELi2EEEESF_Li2ELi16ELi16ELb0ELi0ENSD_IJLi4ELi64ELi1EEEESF_SF_Li2ELi16ELi16ELb0ELi0ELi1ELi1ENSD_IJLi1ELi32ELi1ELi8EEEELi4ELNS_26BlockGemmPipelineSchedulerE1ELNS_24BlockGemmPipelineVersionE1ES6_S6_Lb0ELb1ELb0ELi0ELb0EEELb1ELNS_25InMemoryDataOperationEnumE0ELi2ELNS_10TailNumberE2EEEvNT_8ArgumentE,"axG",@progbits,_ZN2ck27kernel_gemm_xdl_cshuffle_v3INS_28GridwiseGemm_xdl_cshuffle_v3INS_13tensor_layout4gemm8RowMajorENS3_11ColumnMajorES4_NS_9f8_fnuz_tENS_7pk_i4_tEfDF16_DF16_NS_16tensor_operation12element_wise11PassThroughESA_SA_LNS8_6device18GemmSpecializationE0ELi256ELi128ELi128ELi128ELi16ELi16ELi16ELi16ELi4ELi2ENS_8SequenceIJLi8ELi32ELi1EEEENSD_IJLi1ELi0ELi2EEEESF_Li2ELi16ELi16ELb0ELi0ENSD_IJLi4ELi64ELi1EEEESF_SF_Li2ELi16ELi16ELb0ELi0ELi1ELi1ENSD_IJLi1ELi32ELi1ELi8EEEELi4ELNS_26BlockGemmPipelineSchedulerE1ELNS_24BlockGemmPipelineVersionE1ES6_S6_Lb0ELb1ELb0ELi0ELb0EEELb1ELNS_25InMemoryDataOperationEnumE0ELi2ELNS_10TailNumberE2EEEvNT_8ArgumentE,comdat
	.protected	_ZN2ck27kernel_gemm_xdl_cshuffle_v3INS_28GridwiseGemm_xdl_cshuffle_v3INS_13tensor_layout4gemm8RowMajorENS3_11ColumnMajorES4_NS_9f8_fnuz_tENS_7pk_i4_tEfDF16_DF16_NS_16tensor_operation12element_wise11PassThroughESA_SA_LNS8_6device18GemmSpecializationE0ELi256ELi128ELi128ELi128ELi16ELi16ELi16ELi16ELi4ELi2ENS_8SequenceIJLi8ELi32ELi1EEEENSD_IJLi1ELi0ELi2EEEESF_Li2ELi16ELi16ELb0ELi0ENSD_IJLi4ELi64ELi1EEEESF_SF_Li2ELi16ELi16ELb0ELi0ELi1ELi1ENSD_IJLi1ELi32ELi1ELi8EEEELi4ELNS_26BlockGemmPipelineSchedulerE1ELNS_24BlockGemmPipelineVersionE1ES6_S6_Lb0ELb1ELb0ELi0ELb0EEELb1ELNS_25InMemoryDataOperationEnumE0ELi2ELNS_10TailNumberE2EEEvNT_8ArgumentE ; -- Begin function _ZN2ck27kernel_gemm_xdl_cshuffle_v3INS_28GridwiseGemm_xdl_cshuffle_v3INS_13tensor_layout4gemm8RowMajorENS3_11ColumnMajorES4_NS_9f8_fnuz_tENS_7pk_i4_tEfDF16_DF16_NS_16tensor_operation12element_wise11PassThroughESA_SA_LNS8_6device18GemmSpecializationE0ELi256ELi128ELi128ELi128ELi16ELi16ELi16ELi16ELi4ELi2ENS_8SequenceIJLi8ELi32ELi1EEEENSD_IJLi1ELi0ELi2EEEESF_Li2ELi16ELi16ELb0ELi0ENSD_IJLi4ELi64ELi1EEEESF_SF_Li2ELi16ELi16ELb0ELi0ELi1ELi1ENSD_IJLi1ELi32ELi1ELi8EEEELi4ELNS_26BlockGemmPipelineSchedulerE1ELNS_24BlockGemmPipelineVersionE1ES6_S6_Lb0ELb1ELb0ELi0ELb0EEELb1ELNS_25InMemoryDataOperationEnumE0ELi2ELNS_10TailNumberE2EEEvNT_8ArgumentE
	.globl	_ZN2ck27kernel_gemm_xdl_cshuffle_v3INS_28GridwiseGemm_xdl_cshuffle_v3INS_13tensor_layout4gemm8RowMajorENS3_11ColumnMajorES4_NS_9f8_fnuz_tENS_7pk_i4_tEfDF16_DF16_NS_16tensor_operation12element_wise11PassThroughESA_SA_LNS8_6device18GemmSpecializationE0ELi256ELi128ELi128ELi128ELi16ELi16ELi16ELi16ELi4ELi2ENS_8SequenceIJLi8ELi32ELi1EEEENSD_IJLi1ELi0ELi2EEEESF_Li2ELi16ELi16ELb0ELi0ENSD_IJLi4ELi64ELi1EEEESF_SF_Li2ELi16ELi16ELb0ELi0ELi1ELi1ENSD_IJLi1ELi32ELi1ELi8EEEELi4ELNS_26BlockGemmPipelineSchedulerE1ELNS_24BlockGemmPipelineVersionE1ES6_S6_Lb0ELb1ELb0ELi0ELb0EEELb1ELNS_25InMemoryDataOperationEnumE0ELi2ELNS_10TailNumberE2EEEvNT_8ArgumentE
	.p2align	8
	.type	_ZN2ck27kernel_gemm_xdl_cshuffle_v3INS_28GridwiseGemm_xdl_cshuffle_v3INS_13tensor_layout4gemm8RowMajorENS3_11ColumnMajorES4_NS_9f8_fnuz_tENS_7pk_i4_tEfDF16_DF16_NS_16tensor_operation12element_wise11PassThroughESA_SA_LNS8_6device18GemmSpecializationE0ELi256ELi128ELi128ELi128ELi16ELi16ELi16ELi16ELi4ELi2ENS_8SequenceIJLi8ELi32ELi1EEEENSD_IJLi1ELi0ELi2EEEESF_Li2ELi16ELi16ELb0ELi0ENSD_IJLi4ELi64ELi1EEEESF_SF_Li2ELi16ELi16ELb0ELi0ELi1ELi1ENSD_IJLi1ELi32ELi1ELi8EEEELi4ELNS_26BlockGemmPipelineSchedulerE1ELNS_24BlockGemmPipelineVersionE1ES6_S6_Lb0ELb1ELb0ELi0ELb0EEELb1ELNS_25InMemoryDataOperationEnumE0ELi2ELNS_10TailNumberE2EEEvNT_8ArgumentE,@function
_ZN2ck27kernel_gemm_xdl_cshuffle_v3INS_28GridwiseGemm_xdl_cshuffle_v3INS_13tensor_layout4gemm8RowMajorENS3_11ColumnMajorES4_NS_9f8_fnuz_tENS_7pk_i4_tEfDF16_DF16_NS_16tensor_operation12element_wise11PassThroughESA_SA_LNS8_6device18GemmSpecializationE0ELi256ELi128ELi128ELi128ELi16ELi16ELi16ELi16ELi4ELi2ENS_8SequenceIJLi8ELi32ELi1EEEENSD_IJLi1ELi0ELi2EEEESF_Li2ELi16ELi16ELb0ELi0ENSD_IJLi4ELi64ELi1EEEESF_SF_Li2ELi16ELi16ELb0ELi0ELi1ELi1ENSD_IJLi1ELi32ELi1ELi8EEEELi4ELNS_26BlockGemmPipelineSchedulerE1ELNS_24BlockGemmPipelineVersionE1ES6_S6_Lb0ELb1ELb0ELi0ELb0EEELb1ELNS_25InMemoryDataOperationEnumE0ELi2ELNS_10TailNumberE2EEEvNT_8ArgumentE: ; @_ZN2ck27kernel_gemm_xdl_cshuffle_v3INS_28GridwiseGemm_xdl_cshuffle_v3INS_13tensor_layout4gemm8RowMajorENS3_11ColumnMajorES4_NS_9f8_fnuz_tENS_7pk_i4_tEfDF16_DF16_NS_16tensor_operation12element_wise11PassThroughESA_SA_LNS8_6device18GemmSpecializationE0ELi256ELi128ELi128ELi128ELi16ELi16ELi16ELi16ELi4ELi2ENS_8SequenceIJLi8ELi32ELi1EEEENSD_IJLi1ELi0ELi2EEEESF_Li2ELi16ELi16ELb0ELi0ENSD_IJLi4ELi64ELi1EEEESF_SF_Li2ELi16ELi16ELb0ELi0ELi1ELi1ENSD_IJLi1ELi32ELi1ELi8EEEELi4ELNS_26BlockGemmPipelineSchedulerE1ELNS_24BlockGemmPipelineVersionE1ES6_S6_Lb0ELb1ELb0ELi0ELb0EEELb1ELNS_25InMemoryDataOperationEnumE0ELi2ELNS_10TailNumberE2EEEvNT_8ArgumentE
; %bb.0:
	s_clause 0x4
	s_load_b96 s[16:18], s[0:1], 0x20
	s_load_b96 s[20:22], s[0:1], 0x60
	s_load_b128 s[4:7], s[0:1], 0x10
	s_load_b32 s26, s[0:1], 0x3c
	s_load_b128 s[12:15], s[0:1], 0x50
	s_lshr_b32 s2, ttmp7, 16
	s_mov_b32 s8, ttmp9
	s_mov_b64 s[24:25], 0
	s_wait_kmcnt 0x0
	s_cmp_gt_i32 s18, 1
	s_cselect_b32 s3, -1, 0
	s_bitcmp1_b32 s22, 0
	s_cselect_b32 s9, -1, 0
	s_delay_alu instid0(SALU_CYCLE_1) | instskip(NEXT) | instid1(SALU_CYCLE_1)
	s_and_b32 s3, s3, s9
	s_and_not1_b32 vcc_lo, exec_lo, s3
	s_cbranch_vccnz .LBB7_2
; %bb.1:
	s_mul_i32 s3, s4, s2
	s_delay_alu instid0(SALU_CYCLE_1) | instskip(NEXT) | instid1(SALU_CYCLE_1)
	s_mul_i32 s24, s3, s5
	s_ashr_i32 s25, s24, 31
.LBB7_2:
	s_load_b32 s1, s[0:1], 0x34
	s_add_co_i32 s23, s4, -1
	s_mov_b32 s22, 0
	s_cmp_lt_u32 s23, 0x80
	s_cbranch_scc1 .LBB7_6
; %bb.3:
	s_add_co_i32 s0, s5, -1
	s_delay_alu instid0(SALU_CYCLE_1)
	s_cmp_lt_u32 s0, 0x80
	s_mov_b32 s0, 0
	s_cbranch_scc1 .LBB7_10
; %bb.4:
	s_add_co_i32 s0, s4, 0x7f
	s_add_co_i32 s3, s5, 0x7f
	s_ashr_i32 s9, s0, 31
	s_ashr_i32 s10, s3, 31
	s_lshr_b32 s9, s9, 25
	s_lshr_b32 s10, s10, 25
	s_add_co_i32 s0, s0, s9
	s_add_co_i32 s9, s3, s10
	s_ashr_i32 s3, s0, 7
	s_ashr_i32 s0, s9, 7
	s_ashr_i32 s19, s8, 31
	s_mul_i32 s9, s0, s3
	s_delay_alu instid0(SALU_CYCLE_1) | instskip(NEXT) | instid1(SALU_CYCLE_1)
	s_add_co_i32 s10, s9, 7
	s_ashr_i32 s11, s10, 31
	s_delay_alu instid0(SALU_CYCLE_1) | instskip(NEXT) | instid1(SALU_CYCLE_1)
	s_lshr_b32 s11, s11, 29
	s_add_co_i32 s11, s10, s11
	s_lshr_b32 s10, s19, 29
	s_and_b32 s27, s11, -8
	s_add_co_i32 s19, s8, s10
	s_sub_co_i32 s9, s9, s27
	s_and_b32 s10, s19, -8
	s_add_co_i32 s9, s9, 8
	s_sub_co_i32 s10, s8, s10
	s_ashr_i32 s11, s11, 3
	s_cmp_gt_i32 s10, s9
	s_cbranch_scc1 .LBB7_7
; %bb.5:
	s_mul_i32 s8, s11, s10
	s_ashr_i32 s19, s19, 3
	s_cbranch_execz .LBB7_8
	s_branch .LBB7_9
.LBB7_6:
	s_mov_b32 s19, s22
	s_branch .LBB7_11
.LBB7_7:
                                        ; implicit-def: $sgpr8
	s_ashr_i32 s19, s19, 3
.LBB7_8:
	s_add_co_i32 s8, s11, -1
	s_delay_alu instid0(SALU_CYCLE_1) | instskip(NEXT) | instid1(SALU_CYCLE_1)
	s_mul_i32 s8, s8, s10
	s_add_co_i32 s8, s9, s8
.LBB7_9:
	s_abs_i32 s9, s0
	s_add_co_i32 s8, s8, s19
	s_cvt_f32_u32 s10, s9
	s_sub_co_i32 s11, 0, s9
	s_abs_i32 s19, s8
	s_delay_alu instid0(SALU_CYCLE_1) | instskip(NEXT) | instid1(TRANS32_DEP_1)
	v_rcp_iflag_f32_e32 v1, s10
	v_readfirstlane_b32 s10, v1
	s_mul_f32 s10, s10, 0x4f7ffffe
	s_wait_alu 0xfffe
	s_delay_alu instid0(SALU_CYCLE_2) | instskip(SKIP_1) | instid1(SALU_CYCLE_2)
	s_cvt_u32_f32 s10, s10
	s_wait_alu 0xfffe
	s_mul_i32 s11, s11, s10
	s_wait_alu 0xfffe
	s_mul_hi_u32 s11, s10, s11
	s_wait_alu 0xfffe
	s_add_co_i32 s10, s10, s11
	s_xor_b32 s11, s8, s0
	s_wait_alu 0xfffe
	s_mul_hi_u32 s10, s19, s10
	s_ashr_i32 s11, s11, 31
	s_wait_alu 0xfffe
	s_mul_i32 s27, s10, s9
	s_delay_alu instid0(SALU_CYCLE_1)
	s_sub_co_i32 s19, s19, s27
	s_add_co_i32 s27, s10, 1
	s_sub_co_i32 s28, s19, s9
	s_cmp_ge_u32 s19, s9
	s_cselect_b32 s10, s27, s10
	s_cselect_b32 s19, s28, s19
	s_wait_alu 0xfffe
	s_add_co_i32 s27, s10, 1
	s_cmp_ge_u32 s19, s9
	s_cselect_b32 s9, s27, s10
	s_lshr_b32 s10, s3, 30
	s_xor_b32 s9, s9, s11
	s_wait_alu 0xfffe
	s_add_co_i32 s10, s3, s10
	s_sub_co_i32 s9, s9, s11
	s_wait_alu 0xfffe
	s_and_b32 s10, s10, -4
	s_mul_i32 s11, s9, s0
	s_wait_alu 0xfffe
	s_sub_co_i32 s3, s3, s10
	s_sub_co_i32 s8, s8, s11
	s_cmp_ge_i32 s9, s10
	s_cselect_b32 s3, s3, 4
	s_ashr_i32 s19, s9, 31
	s_abs_i32 s10, s3
	s_lshr_b32 s19, s19, 30
	s_wait_alu 0xfffe
	s_cvt_f32_u32 s11, s10
	s_add_co_i32 s19, s9, s19
	s_sub_co_i32 s27, 0, s10
	s_and_b32 s19, s19, -4
	s_wait_alu 0xfffe
	v_rcp_iflag_f32_e32 v1, s11
	s_sub_co_i32 s19, s9, s19
	s_delay_alu instid0(SALU_CYCLE_1) | instskip(NEXT) | instid1(SALU_CYCLE_1)
	s_mul_i32 s0, s19, s0
	s_add_co_i32 s8, s0, s8
	s_delay_alu instid0(TRANS32_DEP_1) | instskip(SKIP_2) | instid1(SALU_CYCLE_2)
	v_readfirstlane_b32 s11, v1
	s_mul_f32 s11, s11, 0x4f7ffffe
	s_wait_alu 0xfffe
	s_cvt_u32_f32 s11, s11
	s_wait_alu 0xfffe
	s_delay_alu instid0(SALU_CYCLE_2) | instskip(NEXT) | instid1(SALU_CYCLE_1)
	s_mul_i32 s27, s27, s11
	s_mul_hi_u32 s0, s11, s27
	s_abs_i32 s27, s8
	s_add_co_i32 s11, s11, s0
	s_wait_alu 0xfffe
	s_mul_hi_u32 s0, s27, s11
	s_xor_b32 s11, s8, s3
	s_mul_i32 s28, s0, s10
	s_wait_alu 0xfffe
	s_ashr_i32 s11, s11, 31
	s_sub_co_i32 s27, s27, s28
	s_add_co_i32 s28, s0, 1
	s_sub_co_i32 s29, s27, s10
	s_cmp_ge_u32 s27, s10
	s_cselect_b32 s0, s28, s0
	s_cselect_b32 s27, s29, s27
	s_add_co_i32 s28, s0, 1
	s_cmp_ge_u32 s27, s10
	s_cselect_b32 s0, s28, s0
	s_wait_alu 0xfffe
	s_xor_b32 s0, s0, s11
	s_delay_alu instid0(SALU_CYCLE_1) | instskip(NEXT) | instid1(SALU_CYCLE_1)
	s_sub_co_i32 s0, s0, s11
	s_mul_i32 s3, s0, s3
	s_delay_alu instid0(SALU_CYCLE_1) | instskip(NEXT) | instid1(SALU_CYCLE_1)
	s_sub_co_i32 s3, s8, s3
	s_add_co_i32 s3, s3, s9
	s_delay_alu instid0(SALU_CYCLE_1)
	s_sub_co_i32 s8, s3, s19
.LBB7_10:
	s_delay_alu instid0(SALU_CYCLE_1)
	s_mov_b32 s19, s8
	s_mov_b32 s8, s0
.LBB7_11:
	v_lshlrev_b32_e32 v1, 1, v0
	s_wait_kmcnt 0x0
	s_mul_i32 s0, s1, s2
	s_add_co_i32 s3, s18, -1
	v_lshrrev_b32_e32 v169, 1, v0
	s_mul_i32 s9, s0, s5
	v_and_b32_e32 v174, 6, v1
	s_mul_i32 s27, s3, s1
	s_lshr_b32 s30, s9, 1
	s_sub_co_i32 s6, s6, s27
	s_cmp_lt_u32 s2, s3
	v_or_b32_e32 v1, 1, v174
	v_dual_mov_b32 v206, 2 :: v_dual_and_b32 v89, 0x7c, v169
	s_cselect_b32 s29, s1, s6
	s_lshl_b32 s6, s8, 7
	v_lshlrev_b32_e32 v3, 4, v174
	v_and_or_b32 v2, 0x7e, v169, s6
	v_sub_nc_u32_e32 v4, v1, v174
	v_lshl_or_b32 v91, s19, 7, v89
	v_dual_mov_b32 v179, 16 :: v_dual_and_b32 v90, 7, v0
	s_delay_alu instid0(VALU_DEP_4) | instskip(NEXT) | instid1(VALU_DEP_4)
	v_lshl_or_b32 v2, v2, 7, v3
	v_lshlrev_b32_e32 v3, 4, v4
	s_delay_alu instid0(VALU_DEP_4) | instskip(NEXT) | instid1(VALU_DEP_4)
	v_mul_lo_u32 v173, v91, s7
	v_lshlrev_b32_e32 v175, 4, v90
	s_ashr_i32 s2, s16, 31
	s_mov_b32 s10, s7
	v_add_nc_u32_e32 v4, v2, v3
	s_lshr_b32 s2, s2, 25
	s_mov_b32 s11, s22
	v_sub_nc_u32_e32 v1, v174, v1
	v_add_nc_u32_e32 v5, v173, v175
	v_dual_mov_b32 v17, 0 :: v_dual_add_nc_u32 v6, 0x80, v4
	s_add_co_i32 s2, s16, s2
	s_mov_b32 s28, s22
	s_wait_alu 0xfffe
	s_mul_u64 s[10:11], s[22:23], s[10:11]
	s_ashr_i32 s1, s0, 31
	s_mov_b32 s31, s22
	s_ashr_i32 s2, s2, 7
	v_ashrrev_i32_e32 v7, 1, v6
	s_mov_b32 s18, 0x31004000
	s_add_nc_u64 s[0:1], s[12:13], s[0:1]
	s_wait_alu 0xfffe
	s_add_nc_u64 s[12:13], s[28:29], s[10:11]
	s_add_nc_u64 s[8:9], s[14:15], s[30:31]
	s_mul_i32 s2, s5, s2
	v_dual_mov_b32 v41, 0 :: v_dual_add_nc_u32 v8, s7, v5
	v_lshlrev_b32_e32 v1, 4, v1
	s_mov_b32 s3, s18
	s_and_b32 s1, s1, 0xffff
	s_mov_b32 s11, s18
	s_and_b32 s9, s9, 0xffff
	s_lshl_b32 s10, s2, 6
	s_mov_b32 s2, s13
	buffer_load_b64 v[81:82], v7, s[8:11], null offen
	s_clause 0x1
	buffer_load_b128 v[49:52], v5, s[0:3], null offen
	buffer_load_b128 v[53:56], v8, s[0:3], null offen
	v_dual_mov_b32 v25, 0 :: v_dual_add_nc_u32 v6, v6, v1
	s_lshl_b32 s12, s5, 7
	v_add_nc_u32_e32 v9, s7, v8
	s_add_co_i32 s14, s12, 0xffffff80
	s_mul_i32 s15, s7, -3
	v_add_nc_u32_e32 v7, s14, v6
	v_ashrrev_i32_e32 v2, 1, v2
	v_add_nc_u32_e32 v5, s7, v9
	s_clause 0x1
	buffer_load_b128 v[57:60], v9, s[0:3], null offen
	buffer_load_b128 v[61:64], v5, s[0:3], null offen
	v_add_nc_u32_e32 v3, v7, v3
	v_add3_u32 v5, 0x80, s15, v5
	v_ashrrev_i32_e32 v6, 1, v6
	v_ashrrev_i32_e32 v4, 1, v4
	s_delay_alu instid0(VALU_DEP_4)
	v_dual_mov_b32 v33, 0 :: v_dual_add_nc_u32 v8, 0x80, v3
	s_clause 0x2
	buffer_load_b64 v[83:84], v2, s[8:11], null offen
	buffer_load_b64 v[85:86], v6, s[8:11], null offen
	;; [unrolled: 1-line block ×3, first 2 shown]
	v_lshrrev_b32_e32 v2, 31, v3
	v_ashrrev_i32_e32 v7, 1, v7
	v_lshrrev_b32_e32 v170, 3, v0
	v_add_nc_u32_e32 v92, v8, v1
	v_add_nc_u32_e32 v1, s7, v5
	v_lshrrev_b32_e32 v4, 31, v8
	v_add_nc_u32_e32 v2, v3, v2
	s_clause 0x1
	buffer_load_b128 v[69:72], v5, s[0:3], null offen
	buffer_load_b128 v[65:68], v1, s[0:3], null offen
	v_lshrrev_b32_e32 v6, 31, v92
	v_add_nc_u32_e32 v9, s7, v1
	v_add_nc_u32_e32 v3, v8, v4
	v_ashrrev_i32_e32 v2, 1, v2
	v_bfe_u32 v93, v0, 2, 4
	v_add_nc_u32_e32 v4, v92, v6
	v_add_nc_u32_e32 v1, s7, v9
	v_ashrrev_i32_e32 v3, 1, v3
	v_or_b32_e32 v98, 3, v169
	v_or_b32_e32 v113, 3, v91
	v_ashrrev_i32_e32 v4, 1, v4
	s_clause 0x1
	buffer_load_b128 v[73:76], v9, s[0:3], null offen
	buffer_load_b128 v[77:80], v1, s[0:3], null offen
	s_clause 0x3
	buffer_load_b64 v[145:146], v7, s[8:11], null offen
	buffer_load_b64 v[147:148], v2, s[8:11], null offen
	;; [unrolled: 1-line block ×4, first 2 shown]
	v_dual_mov_b32 v2, 0 :: v_dual_lshlrev_b32 v5, 2, v0
	v_and_b32_e32 v4, 15, v0
	v_dual_mov_b32 v1, 0 :: v_dual_and_b32 v94, 4, v169
	s_delay_alu instid0(VALU_DEP_3) | instskip(NEXT) | instid1(VALU_DEP_4)
	v_mov_b32_e32 v30, v2
	v_dual_mov_b32 v13, v2 :: v_dual_and_b32 v96, 64, v5
	v_mov_b32_e32 v7, v2
	v_and_or_b32 v171, v170, 16, v4
	v_mov_b32_e32 v11, v2
	s_delay_alu instid0(VALU_DEP_4)
	v_lshrrev_b32_e32 v101, 4, v96
	v_or_b32_e32 v104, 1, v94
	v_dual_mov_b32 v45, v2 :: v_dual_lshlrev_b32 v100, 1, v174
	v_dual_mov_b32 v47, v2 :: v_dual_lshlrev_b32 v102, 7, v171
	v_xor_b32_e32 v99, v94, v90
	v_xor_b32_e32 v107, v101, v90
	;; [unrolled: 1-line block ×3, first 2 shown]
	v_lshrrev_b32_e32 v3, 2, v0
	v_and_or_b32 v97, v169, 48, v4
	v_lshrrev_b32_e32 v96, 3, v96
	v_or_b32_e32 v105, 2, v94
	v_or_b32_e32 v94, 3, v94
	v_xor_b32_e32 v106, v100, v93
	v_or_b32_e32 v108, 1, v100
	v_or_b32_e32 v109, 3, v100
	;; [unrolled: 1-line block ×6, first 2 shown]
	v_lshl_or_b32 v183, v107, 4, v102
	v_sub_nc_u32_e32 v102, v104, v99
	v_dual_mov_b32 v32, v2 :: v_dual_lshlrev_b32 v95, 8, v3
	v_lshlrev_b32_e32 v89, 7, v89
	v_lshrrev_b32_e32 v103, 1, v97
	v_bfe_u32 v97, v97, 1, 4
	v_and_or_b32 v96, v0, 1, v96
	v_xor_b32_e32 v105, v105, v90
	v_xor_b32_e32 v94, v94, v90
	;; [unrolled: 1-line block ×8, first 2 shown]
	v_sub_nc_u32_e32 v110, v110, v101
	v_sub_nc_u32_e32 v111, v111, v101
	;; [unrolled: 1-line block ×3, first 2 shown]
	v_lshlrev_b32_e32 v191, 4, v102
	v_xor_b32_e32 v98, v98, v0
	v_lshl_or_b32 v89, v99, 4, v89
	v_lshl_or_b32 v207, v106, 4, v95
	v_xor_b32_e32 v95, v97, v96
	v_mul_lo_u32 v187, s7, v113
	v_sub_nc_u32_e32 v112, v93, v106
	v_sub_nc_u32_e32 v100, v100, v107
	v_sub_nc_u32_e32 v113, v115, v107
	v_sub_nc_u32_e32 v90, v90, v107
	v_lshl_add_u32 v107, v110, 1, v96
	v_lshl_add_u32 v110, v111, 1, v96
	;; [unrolled: 1-line block ×3, first 2 shown]
	v_sub_nc_u32_e32 v101, v93, v109
	v_sub_nc_u32_e32 v93, v106, v93
	v_dual_mov_b32 v35, v2 :: v_dual_add_nc_u32 v198, 0x80, v191
	v_and_b32_e32 v98, 7, v98
	v_lshlrev_b32_e32 v103, 8, v103
	v_or_b32_e32 v91, 2, v91
	v_lshlrev_b32_e32 v202, 4, v93
	v_add_nc_u32_e32 v93, v198, v89
	v_sub_nc_u32_e32 v104, v105, v104
	v_sub_nc_u32_e32 v114, v94, v105
	;; [unrolled: 1-line block ×4, first 2 shown]
	v_mul_lo_u32 v189, s7, v91
	v_lshl_add_u32 v194, v104, 4, 0x80
	v_sub_nc_u32_e32 v104, v109, v106
	v_xor_b32_e32 v96, v96, v97
	v_lshl_add_u32 v197, v98, 4, 0xfffffe80
	v_sub_nc_u32_e32 v98, v109, v108
	v_sub_nc_u32_e32 v94, v99, v94
	v_lshlrev_b32_e32 v99, 4, v114
	v_lshl_add_u32 v196, v105, 4, 0x80
	v_lshlrev_b32_e32 v100, 4, v100
	v_lshlrev_b32_e32 v105, 4, v113
	;; [unrolled: 1-line block ×4, first 2 shown]
	v_dual_mov_b32 v39, v2 :: v_dual_lshlrev_b32 v94, 4, v94
	s_delay_alu instid0(VALU_DEP_4)
	v_add_nc_u32_e32 v192, v105, v183
	v_lshlrev_b32_e32 v90, 4, v90
	v_or3_b32 v180, 0, 0, 0
	v_dual_mov_b32 v3, v2 :: v_dual_add_nc_u32 v208, s14, v92
	s_ashr_i32 s2, s26, 31
	v_lshrrev_b32_e32 v102, 1, v207
	s_lshr_b32 s2, s2, 29
	v_mov_b32_e32 v9, 0
	s_add_co_i32 s26, s26, s2
	v_dual_mov_b32 v4, v2 :: v_dual_mov_b32 v5, v2
	v_mov_b32_e32 v6, v2
	v_mov_b32_e32 v8, v2
	;; [unrolled: 1-line block ×4, first 2 shown]
	v_dual_mov_b32 v14, v2 :: v_dual_mov_b32 v15, v2
	v_mov_b32_e32 v42, v2
	v_mov_b32_e32 v16, v2
	v_dual_mov_b32 v18, v2 :: v_dual_mov_b32 v19, v2
	v_mov_b32_e32 v44, v2
	v_dual_mov_b32 v20, v2 :: v_dual_mov_b32 v21, v2
	;; [unrolled: 2-line block ×3, first 2 shown]
	v_mov_b32_e32 v48, v2
	v_mov_b32_e32 v24, v2
	v_dual_mov_b32 v26, v2 :: v_dual_mov_b32 v27, v2
	v_mov_b32_e32 v34, v2
	v_dual_mov_b32 v28, v2 :: v_dual_mov_b32 v29, v2
	v_dual_mov_b32 v36, v2 :: v_dual_mov_b32 v31, v2
	;; [unrolled: 1-line block ×4, first 2 shown]
	v_add_nc_u32_e32 v190, s7, v173
	v_or_b32_e32 v184, 16, v174
	v_or_b32_e32 v186, 17, v174
	s_mov_b32 s2, s13
	s_ashr_i32 s13, s26, 3
	s_mov_b32 s7, s22
	s_add_co_i32 s13, s13, -2
	s_wait_loadcnt 0xe
	ds_store_b128 v89, v[49:52]
	s_wait_loadcnt 0xd
	ds_store_b128 v93, v[53:56]
	v_mov_b32_e32 v52, v2
	v_lshl_or_b32 v91, v95, 4, v103
	v_sub_nc_u32_e32 v103, v108, v106
	v_xor_b32_e32 v106, v107, v97
	v_xor_b32_e32 v107, v110, v97
	v_mov_b32_e32 v51, v2
	v_add_nc_u32_e32 v98, v198, v194
	v_lshlrev_b32_e32 v199, 4, v103
	v_sub_nc_u32_e32 v106, v106, v95
	v_sub_nc_u32_e32 v107, v107, v95
	v_sub_nc_u32_e32 v95, v96, v95
	v_or_b32_e32 v97, 0x2000, v91
	v_add_nc_u32_e32 v101, v199, v207
	v_mov_b32_e32 v53, v2
	v_add_nc_u32_e32 v195, v100, v183
	v_lshlrev_b32_e32 v105, 4, v107
	v_lshlrev_b32_e32 v95, 4, v95
	v_ashrrev_i32_e32 v100, 1, v101
	v_dual_mov_b32 v56, v2 :: v_dual_lshlrev_b32 v101, 4, v106
	v_add3_u32 v96, v98, v89, v99
	v_lshrrev_b32_e32 v188, 1, v91
	v_dual_mov_b32 v55, v2 :: v_dual_and_b32 v92, 0xff, v82
	v_add_nc_u32_e32 v193, v90, v183
	s_delay_alu instid0(VALU_DEP_4)
	v_add3_u32 v203, v96, v94, 0xffffff00
	v_add_nc_u32_e32 v94, v101, v91
	v_add_nc_u32_e32 v96, v105, v91
	;; [unrolled: 1-line block ×5, first 2 shown]
	v_ashrrev_i32_e32 v185, 1, v94
	v_and_b32_e32 v94, 0xff0000, v81
	v_ashrrev_i32_e32 v181, 1, v91
	v_ashrrev_i32_e32 v172, 1, v95
	v_and_b32_e32 v91, 0xffff0000, v82
	v_and_b32_e32 v82, 0xff00, v82
	;; [unrolled: 1-line block ×3, first 2 shown]
	v_lshl_add_u32 v103, v104, 4, v207
	v_ashrrev_i32_e32 v182, 1, v96
	v_and_b32_e32 v96, 0xff00, v81
	v_and_b32_e32 v81, 0xff, v81
	v_or3_b32 v82, v82, v91, v92
	v_or3_b32 v91, v180, v95, v94
	v_lshl_add_u32 v104, v112, 4, v207
	v_add3_u32 v98, v98, v196, v197
	v_add_nc_u32_e32 v101, v101, v97
	v_add_nc_u32_e32 v105, v105, v97
	;; [unrolled: 1-line block ×3, first 2 shown]
	v_ashrrev_i32_e32 v103, 1, v103
	v_or3_b32 v50, v82, 0, 0
	v_or3_b32 v49, v91, v96, v81
	v_ashrrev_i32_e32 v104, 1, v104
	v_lshrrev_b32_e32 v178, 1, v97
	v_add_nc_u32_e32 v204, v98, v98
	v_ashrrev_i32_e32 v177, 1, v101
	v_ashrrev_i32_e32 v176, 1, v105
	s_wait_loadcnt 0xc
	ds_store_b128 v90, v[57:60]
	s_wait_loadcnt 0xb
	ds_store_b128 v99, v[61:64] offset:128
	s_wait_loadcnt 0xa
	ds_store_b64 v102, v[83:84] offset:16384
	s_wait_loadcnt 0x9
	ds_store_b64 v100, v[85:86] offset:16384
	ds_store_b64 v103, v[49:50] offset:16384
	v_dual_mov_b32 v49, 0 :: v_dual_mov_b32 v50, v2
	v_dual_mov_b32 v54, v2 :: v_dual_mov_b32 v57, 0
	;; [unrolled: 1-line block ×5, first 2 shown]
	v_mov_b32_e32 v64, v2
	s_wait_loadcnt 0x8
	ds_store_b64 v104, v[87:88] offset:16384
.LBB7_12:                               ; =>This Inner Loop Header: Depth=1
	s_wait_dscnt 0x0
	s_barrier_signal -1
	s_barrier_wait -1
	ds_load_b128 v[133:136], v183
	ds_load_b128 v[125:128], v195
	;; [unrolled: 1-line block ×4, first 2 shown]
	ds_load_b128 v[137:140], v183 offset:4096
	ds_load_b128 v[113:116], v195 offset:4096
	;; [unrolled: 1-line block ×12, first 2 shown]
	ds_load_b64 v[156:157], v188 offset:16384
	v_add_nc_u32_e32 v205, v175, v173
	s_wait_dscnt 0x0
	;;#ASMSTART
	v_cvt_off_f32_i4 v154, v156
	;;#ASMEND
	v_ashrrev_i32_e32 v153, 16, v156
	;;#ASMSTART
	v_cvt_off_f32_i4 v155, v153
	;;#ASMEND
	v_mov_b32_e32 v153, 0
	s_delay_alu instid0(VALU_DEP_1)
	v_cvt_pk_fp8_f32 v153, v154, v155
	v_ashrrev_i32_e32 v154, 8, v156
	;;#ASMSTART
	v_cvt_off_f32_i4 v155, v154
	;;#ASMEND
	v_ashrrev_i32_e32 v154, 24, v156
	;;#ASMSTART
	v_cvt_off_f32_i4 v158, v154
	;;#ASMEND
	v_mov_b32_e32 v154, 0
	s_delay_alu instid0(VALU_DEP_1) | instskip(SKIP_4) | instid1(VALU_DEP_1)
	v_cvt_pk_fp8_f32 v154, v155, v158
	v_ashrrev_i32_e32 v155, 4, v156
	;;#ASMSTART
	v_cvt_off_f32_i4 v155, v155
	;;#ASMEND
	v_ashrrev_i32_e32 v158, 20, v156
	;;#ASMSTART
	v_cvt_off_f32_i4 v158, v158
	;;#ASMEND
	v_cvt_pk_fp8_f32 v153, v155, v158 op_sel:[0,0,1]
	v_ashrrev_i32_e32 v155, 12, v156
	;;#ASMSTART
	v_cvt_off_f32_i4 v155, v155
	;;#ASMEND
	v_ashrrev_i32_e32 v156, 28, v156
	;;#ASMSTART
	v_cvt_off_f32_i4 v156, v156
	;;#ASMEND
	s_delay_alu instid0(VALU_DEP_1) | instskip(SKIP_4) | instid1(VALU_DEP_1)
	v_cvt_pk_fp8_f32 v154, v155, v156 op_sel:[0,0,1]
	v_ashrrev_i32_e32 v155, 16, v157
	;;#ASMSTART
	v_cvt_off_f32_i4 v156, v157
	;;#ASMEND
	;;#ASMSTART
	v_cvt_off_f32_i4 v158, v155
	;;#ASMEND
	v_mov_b32_e32 v155, 0
	v_cvt_pk_fp8_f32 v155, v156, v158
	v_ashrrev_i32_e32 v156, 8, v157
	;;#ASMSTART
	v_cvt_off_f32_i4 v158, v156
	;;#ASMEND
	v_ashrrev_i32_e32 v156, 24, v157
	;;#ASMSTART
	v_cvt_off_f32_i4 v159, v156
	;;#ASMEND
	v_mov_b32_e32 v156, 0
	s_delay_alu instid0(VALU_DEP_1) | instskip(SKIP_4) | instid1(VALU_DEP_1)
	v_cvt_pk_fp8_f32 v156, v158, v159
	v_ashrrev_i32_e32 v158, 4, v157
	;;#ASMSTART
	v_cvt_off_f32_i4 v158, v158
	;;#ASMEND
	v_ashrrev_i32_e32 v159, 20, v157
	;;#ASMSTART
	v_cvt_off_f32_i4 v159, v159
	;;#ASMEND
	v_cvt_pk_fp8_f32 v155, v158, v159 op_sel:[0,0,1]
	v_ashrrev_i32_e32 v158, 12, v157
	v_ashrrev_i32_e32 v157, 28, v157
	;;#ASMSTART
	v_cvt_off_f32_i4 v158, v158
	;;#ASMEND
	;;#ASMSTART
	v_cvt_off_f32_i4 v157, v157
	;;#ASMEND
	ds_load_b64 v[159:160], v185 offset:16384
	v_cvt_pk_fp8_f32 v156, v158, v157 op_sel:[0,0,1]
	s_wait_dscnt 0x0
	;;#ASMSTART
	v_cvt_off_f32_i4 v158, v159
	;;#ASMEND
	v_ashrrev_i32_e32 v157, 16, v159
	;;#ASMSTART
	v_cvt_off_f32_i4 v161, v157
	;;#ASMEND
	v_mov_b32_e32 v157, 0
	s_delay_alu instid0(VALU_DEP_1)
	v_cvt_pk_fp8_f32 v157, v158, v161
	v_ashrrev_i32_e32 v158, 8, v159
	;;#ASMSTART
	v_cvt_off_f32_i4 v161, v158
	;;#ASMEND
	v_ashrrev_i32_e32 v158, 24, v159
	;;#ASMSTART
	v_cvt_off_f32_i4 v162, v158
	;;#ASMEND
	v_mov_b32_e32 v158, 0
	s_delay_alu instid0(VALU_DEP_1) | instskip(SKIP_4) | instid1(VALU_DEP_1)
	v_cvt_pk_fp8_f32 v158, v161, v162
	v_ashrrev_i32_e32 v161, 4, v159
	;;#ASMSTART
	v_cvt_off_f32_i4 v161, v161
	;;#ASMEND
	v_ashrrev_i32_e32 v162, 20, v159
	;;#ASMSTART
	v_cvt_off_f32_i4 v162, v162
	;;#ASMEND
	v_cvt_pk_fp8_f32 v157, v161, v162 op_sel:[0,0,1]
	v_ashrrev_i32_e32 v161, 12, v159
	;;#ASMSTART
	v_cvt_off_f32_i4 v161, v161
	;;#ASMEND
	v_ashrrev_i32_e32 v159, 28, v159
	;;#ASMSTART
	v_cvt_off_f32_i4 v159, v159
	;;#ASMEND
	s_delay_alu instid0(VALU_DEP_1) | instskip(SKIP_4) | instid1(VALU_DEP_1)
	v_cvt_pk_fp8_f32 v158, v161, v159 op_sel:[0,0,1]
	v_ashrrev_i32_e32 v161, 16, v160
	;;#ASMSTART
	v_cvt_off_f32_i4 v159, v160
	;;#ASMEND
	;;#ASMSTART
	v_cvt_off_f32_i4 v162, v161
	;;#ASMEND
	v_mov_b32_e32 v161, 0
	v_cvt_pk_fp8_f32 v161, v159, v162
	v_ashrrev_i32_e32 v159, 8, v160
	v_ashrrev_i32_e32 v162, 24, v160
	;;#ASMSTART
	v_cvt_off_f32_i4 v159, v159
	;;#ASMEND
	;;#ASMSTART
	v_cvt_off_f32_i4 v163, v162
	;;#ASMEND
	v_mov_b32_e32 v162, 0
	s_delay_alu instid0(VALU_DEP_1) | instskip(SKIP_4) | instid1(VALU_DEP_1)
	v_cvt_pk_fp8_f32 v162, v159, v163
	v_ashrrev_i32_e32 v159, 4, v160
	;;#ASMSTART
	v_cvt_off_f32_i4 v159, v159
	;;#ASMEND
	v_ashrrev_i32_e32 v163, 20, v160
	;;#ASMSTART
	v_cvt_off_f32_i4 v163, v163
	;;#ASMEND
	v_cvt_pk_fp8_f32 v161, v159, v163 op_sel:[0,0,1]
	v_ashrrev_i32_e32 v159, 12, v160
	v_ashrrev_i32_e32 v160, 28, v160
	;;#ASMSTART
	v_cvt_off_f32_i4 v159, v159
	;;#ASMEND
	;;#ASMSTART
	v_cvt_off_f32_i4 v160, v160
	;;#ASMEND
	ds_load_b64 v[164:165], v182 offset:16384
	v_cvt_pk_fp8_f32 v162, v159, v160 op_sel:[0,0,1]
	s_wait_dscnt 0x0
	;;#ASMSTART
	v_cvt_off_f32_i4 v160, v164
	;;#ASMEND
	v_ashrrev_i32_e32 v159, 16, v164
	;;#ASMSTART
	v_cvt_off_f32_i4 v163, v159
	;;#ASMEND
	v_mov_b32_e32 v159, 0
	s_delay_alu instid0(VALU_DEP_1)
	v_cvt_pk_fp8_f32 v159, v160, v163
	v_ashrrev_i32_e32 v160, 8, v164
	;;#ASMSTART
	v_cvt_off_f32_i4 v163, v160
	;;#ASMEND
	v_ashrrev_i32_e32 v160, 24, v164
	;;#ASMSTART
	v_cvt_off_f32_i4 v166, v160
	;;#ASMEND
	v_mov_b32_e32 v160, 0
	s_delay_alu instid0(VALU_DEP_1) | instskip(SKIP_4) | instid1(VALU_DEP_1)
	v_cvt_pk_fp8_f32 v160, v163, v166
	v_ashrrev_i32_e32 v163, 4, v164
	;;#ASMSTART
	v_cvt_off_f32_i4 v163, v163
	;;#ASMEND
	v_ashrrev_i32_e32 v166, 20, v164
	;;#ASMSTART
	v_cvt_off_f32_i4 v166, v166
	;;#ASMEND
	v_cvt_pk_fp8_f32 v159, v163, v166 op_sel:[0,0,1]
	v_ashrrev_i32_e32 v163, 12, v164
	;;#ASMSTART
	v_cvt_off_f32_i4 v163, v163
	;;#ASMEND
	v_ashrrev_i32_e32 v164, 28, v164
	;;#ASMSTART
	v_cvt_off_f32_i4 v164, v164
	;;#ASMEND
	s_delay_alu instid0(VALU_DEP_1) | instskip(SKIP_4) | instid1(VALU_DEP_1)
	v_cvt_pk_fp8_f32 v160, v163, v164 op_sel:[0,0,1]
	v_ashrrev_i32_e32 v163, 16, v165
	;;#ASMSTART
	v_cvt_off_f32_i4 v164, v165
	;;#ASMEND
	;;#ASMSTART
	v_cvt_off_f32_i4 v166, v163
	;;#ASMEND
	v_mov_b32_e32 v163, 0
	v_cvt_pk_fp8_f32 v163, v164, v166
	v_ashrrev_i32_e32 v164, 8, v165
	;;#ASMSTART
	v_cvt_off_f32_i4 v166, v164
	;;#ASMEND
	v_ashrrev_i32_e32 v164, 24, v165
	;;#ASMSTART
	v_cvt_off_f32_i4 v167, v164
	;;#ASMEND
	v_mov_b32_e32 v164, 0
	s_delay_alu instid0(VALU_DEP_1) | instskip(SKIP_4) | instid1(VALU_DEP_1)
	v_cvt_pk_fp8_f32 v164, v166, v167
	v_ashrrev_i32_e32 v166, 4, v165
	;;#ASMSTART
	v_cvt_off_f32_i4 v166, v166
	;;#ASMEND
	v_ashrrev_i32_e32 v167, 20, v165
	;;#ASMSTART
	v_cvt_off_f32_i4 v167, v167
	;;#ASMEND
	v_cvt_pk_fp8_f32 v163, v166, v167 op_sel:[0,0,1]
	v_ashrrev_i32_e32 v166, 12, v165
	v_ashrrev_i32_e32 v165, 28, v165
	;;#ASMSTART
	v_cvt_off_f32_i4 v166, v166
	;;#ASMEND
	;;#ASMSTART
	v_cvt_off_f32_i4 v165, v165
	;;#ASMEND
	ds_load_b64 v[209:210], v181 offset:16384
	v_cvt_pk_fp8_f32 v164, v166, v165 op_sel:[0,0,1]
	s_wait_dscnt 0x0
	;;#ASMSTART
	v_cvt_off_f32_i4 v166, v209
	;;#ASMEND
	v_ashrrev_i32_e32 v165, 16, v209
	;;#ASMSTART
	v_cvt_off_f32_i4 v167, v165
	;;#ASMEND
	v_mov_b32_e32 v165, 0
	s_delay_alu instid0(VALU_DEP_1)
	v_cvt_pk_fp8_f32 v165, v166, v167
	v_ashrrev_i32_e32 v166, 8, v209
	;;#ASMSTART
	v_cvt_off_f32_i4 v167, v166
	;;#ASMEND
	v_ashrrev_i32_e32 v166, 24, v209
	;;#ASMSTART
	v_cvt_off_f32_i4 v168, v166
	;;#ASMEND
	v_mov_b32_e32 v166, 0
	s_delay_alu instid0(VALU_DEP_1) | instskip(SKIP_4) | instid1(VALU_DEP_1)
	v_cvt_pk_fp8_f32 v166, v167, v168
	v_ashrrev_i32_e32 v167, 4, v209
	;;#ASMSTART
	v_cvt_off_f32_i4 v167, v167
	;;#ASMEND
	v_ashrrev_i32_e32 v168, 20, v209
	;;#ASMSTART
	v_cvt_off_f32_i4 v168, v168
	;;#ASMEND
	v_cvt_pk_fp8_f32 v165, v167, v168 op_sel:[0,0,1]
	v_ashrrev_i32_e32 v167, 12, v209
	;;#ASMSTART
	v_cvt_off_f32_i4 v167, v167
	;;#ASMEND
	v_ashrrev_i32_e32 v168, 28, v209
	;;#ASMSTART
	v_cvt_off_f32_i4 v168, v168
	;;#ASMEND
	s_delay_alu instid0(VALU_DEP_1) | instskip(SKIP_4) | instid1(VALU_DEP_1)
	v_cvt_pk_fp8_f32 v166, v167, v168 op_sel:[0,0,1]
	v_ashrrev_i32_e32 v167, 16, v210
	;;#ASMSTART
	v_cvt_off_f32_i4 v168, v210
	;;#ASMEND
	;;#ASMSTART
	v_cvt_off_f32_i4 v209, v167
	;;#ASMEND
	v_mov_b32_e32 v167, 0
	v_cvt_pk_fp8_f32 v167, v168, v209
	v_ashrrev_i32_e32 v168, 8, v210
	;;#ASMSTART
	v_cvt_off_f32_i4 v209, v168
	;;#ASMEND
	v_ashrrev_i32_e32 v168, 24, v210
	;;#ASMSTART
	v_cvt_off_f32_i4 v211, v168
	;;#ASMEND
	v_mov_b32_e32 v168, 0
	s_delay_alu instid0(VALU_DEP_1) | instskip(SKIP_4) | instid1(VALU_DEP_1)
	v_cvt_pk_fp8_f32 v168, v209, v211
	v_ashrrev_i32_e32 v209, 4, v210
	;;#ASMSTART
	v_cvt_off_f32_i4 v209, v209
	;;#ASMEND
	v_ashrrev_i32_e32 v211, 20, v210
	;;#ASMSTART
	v_cvt_off_f32_i4 v211, v211
	;;#ASMEND
	v_cvt_pk_fp8_f32 v167, v209, v211 op_sel:[0,0,1]
	v_ashrrev_i32_e32 v209, 12, v210
	v_ashrrev_i32_e32 v210, 28, v210
	;;#ASMSTART
	v_cvt_off_f32_i4 v209, v209
	;;#ASMEND
	;;#ASMSTART
	v_cvt_off_f32_i4 v210, v210
	;;#ASMEND
	s_delay_alu instid0(VALU_DEP_1)
	v_cvt_pk_fp8_f32 v168, v209, v210 op_sel:[0,0,1]
	ds_load_b64 v[209:210], v178 offset:16384
	s_wait_dscnt 0x0
	;;#ASMSTART
	v_cvt_off_f32_i4 v212, v209
	;;#ASMEND
	v_ashrrev_i32_e32 v211, 16, v209
	;;#ASMSTART
	v_cvt_off_f32_i4 v213, v211
	;;#ASMEND
	v_mov_b32_e32 v211, 0
	s_delay_alu instid0(VALU_DEP_1)
	v_cvt_pk_fp8_f32 v211, v212, v213
	v_ashrrev_i32_e32 v212, 8, v209
	;;#ASMSTART
	v_cvt_off_f32_i4 v213, v212
	;;#ASMEND
	v_ashrrev_i32_e32 v212, 24, v209
	;;#ASMSTART
	v_cvt_off_f32_i4 v214, v212
	;;#ASMEND
	v_mov_b32_e32 v212, 0
	s_delay_alu instid0(VALU_DEP_1) | instskip(SKIP_4) | instid1(VALU_DEP_1)
	v_cvt_pk_fp8_f32 v212, v213, v214
	v_ashrrev_i32_e32 v213, 4, v209
	;;#ASMSTART
	v_cvt_off_f32_i4 v213, v213
	;;#ASMEND
	v_ashrrev_i32_e32 v214, 20, v209
	;;#ASMSTART
	v_cvt_off_f32_i4 v214, v214
	;;#ASMEND
	v_cvt_pk_fp8_f32 v211, v213, v214 op_sel:[0,0,1]
	v_ashrrev_i32_e32 v213, 12, v209
	;;#ASMSTART
	v_cvt_off_f32_i4 v213, v213
	;;#ASMEND
	v_ashrrev_i32_e32 v209, 28, v209
	;;#ASMSTART
	v_cvt_off_f32_i4 v209, v209
	;;#ASMEND
	s_delay_alu instid0(VALU_DEP_1) | instskip(SKIP_4) | instid1(VALU_DEP_1)
	v_cvt_pk_fp8_f32 v212, v213, v209 op_sel:[0,0,1]
	v_ashrrev_i32_e32 v213, 16, v210
	;;#ASMSTART
	v_cvt_off_f32_i4 v209, v210
	;;#ASMEND
	;;#ASMSTART
	v_cvt_off_f32_i4 v214, v213
	;;#ASMEND
	v_mov_b32_e32 v213, 0
	v_cvt_pk_fp8_f32 v213, v209, v214
	v_ashrrev_i32_e32 v209, 8, v210
	v_ashrrev_i32_e32 v214, 24, v210
	;;#ASMSTART
	v_cvt_off_f32_i4 v209, v209
	;;#ASMEND
	;;#ASMSTART
	v_cvt_off_f32_i4 v215, v214
	;;#ASMEND
	v_mov_b32_e32 v214, 0
	s_delay_alu instid0(VALU_DEP_1) | instskip(SKIP_4) | instid1(VALU_DEP_1)
	v_cvt_pk_fp8_f32 v214, v209, v215
	v_ashrrev_i32_e32 v209, 4, v210
	;;#ASMSTART
	v_cvt_off_f32_i4 v209, v209
	;;#ASMEND
	v_ashrrev_i32_e32 v215, 20, v210
	;;#ASMSTART
	v_cvt_off_f32_i4 v215, v215
	;;#ASMEND
	v_cvt_pk_fp8_f32 v213, v209, v215 op_sel:[0,0,1]
	v_ashrrev_i32_e32 v209, 12, v210
	v_ashrrev_i32_e32 v210, 28, v210
	;;#ASMSTART
	v_cvt_off_f32_i4 v209, v209
	;;#ASMEND
	;;#ASMSTART
	v_cvt_off_f32_i4 v210, v210
	;;#ASMEND
	s_delay_alu instid0(VALU_DEP_1)
	v_cvt_pk_fp8_f32 v214, v209, v210 op_sel:[0,0,1]
	ds_load_b64 v[209:210], v177 offset:16384
	s_wait_dscnt 0x0
	;;#ASMSTART
	v_cvt_off_f32_i4 v216, v209
	;;#ASMEND
	v_ashrrev_i32_e32 v215, 16, v209
	;;#ASMSTART
	v_cvt_off_f32_i4 v217, v215
	;;#ASMEND
	v_mov_b32_e32 v215, 0
	s_delay_alu instid0(VALU_DEP_1)
	v_cvt_pk_fp8_f32 v215, v216, v217
	v_ashrrev_i32_e32 v216, 8, v209
	;;#ASMSTART
	v_cvt_off_f32_i4 v217, v216
	;;#ASMEND
	v_ashrrev_i32_e32 v216, 24, v209
	;;#ASMSTART
	v_cvt_off_f32_i4 v218, v216
	;;#ASMEND
	v_mov_b32_e32 v216, 0
	s_delay_alu instid0(VALU_DEP_1) | instskip(SKIP_4) | instid1(VALU_DEP_1)
	v_cvt_pk_fp8_f32 v216, v217, v218
	v_ashrrev_i32_e32 v217, 4, v209
	;;#ASMSTART
	v_cvt_off_f32_i4 v217, v217
	;;#ASMEND
	v_ashrrev_i32_e32 v218, 20, v209
	;;#ASMSTART
	v_cvt_off_f32_i4 v218, v218
	;;#ASMEND
	v_cvt_pk_fp8_f32 v215, v217, v218 op_sel:[0,0,1]
	v_ashrrev_i32_e32 v217, 12, v209
	;;#ASMSTART
	v_cvt_off_f32_i4 v217, v217
	;;#ASMEND
	v_ashrrev_i32_e32 v209, 28, v209
	;;#ASMSTART
	v_cvt_off_f32_i4 v209, v209
	;;#ASMEND
	s_delay_alu instid0(VALU_DEP_1) | instskip(SKIP_4) | instid1(VALU_DEP_1)
	v_cvt_pk_fp8_f32 v216, v217, v209 op_sel:[0,0,1]
	v_ashrrev_i32_e32 v217, 16, v210
	;;#ASMSTART
	v_cvt_off_f32_i4 v209, v210
	;;#ASMEND
	;;#ASMSTART
	v_cvt_off_f32_i4 v218, v217
	;;#ASMEND
	v_mov_b32_e32 v217, 0
	v_cvt_pk_fp8_f32 v217, v209, v218
	v_ashrrev_i32_e32 v209, 8, v210
	v_ashrrev_i32_e32 v218, 24, v210
	;;#ASMSTART
	v_cvt_off_f32_i4 v209, v209
	;;#ASMEND
	;;#ASMSTART
	v_cvt_off_f32_i4 v219, v218
	;;#ASMEND
	v_mov_b32_e32 v218, 0
	s_delay_alu instid0(VALU_DEP_1) | instskip(SKIP_4) | instid1(VALU_DEP_1)
	v_cvt_pk_fp8_f32 v218, v209, v219
	v_ashrrev_i32_e32 v209, 4, v210
	;;#ASMSTART
	v_cvt_off_f32_i4 v209, v209
	;;#ASMEND
	v_ashrrev_i32_e32 v219, 20, v210
	;;#ASMSTART
	v_cvt_off_f32_i4 v219, v219
	;;#ASMEND
	v_cvt_pk_fp8_f32 v217, v209, v219 op_sel:[0,0,1]
	v_ashrrev_i32_e32 v209, 12, v210
	v_ashrrev_i32_e32 v210, 28, v210
	;;#ASMSTART
	v_cvt_off_f32_i4 v209, v209
	;;#ASMEND
	;;#ASMSTART
	v_cvt_off_f32_i4 v210, v210
	;;#ASMEND
	s_delay_alu instid0(VALU_DEP_1)
	v_cvt_pk_fp8_f32 v218, v209, v210 op_sel:[0,0,1]
	ds_load_b64 v[209:210], v176 offset:16384
	s_wait_dscnt 0x0
	;;#ASMSTART
	v_cvt_off_f32_i4 v220, v209
	;;#ASMEND
	v_ashrrev_i32_e32 v219, 16, v209
	;;#ASMSTART
	v_cvt_off_f32_i4 v221, v219
	;;#ASMEND
	v_mov_b32_e32 v219, 0
	s_delay_alu instid0(VALU_DEP_1)
	v_cvt_pk_fp8_f32 v219, v220, v221
	v_ashrrev_i32_e32 v220, 8, v209
	;;#ASMSTART
	v_cvt_off_f32_i4 v221, v220
	;;#ASMEND
	v_ashrrev_i32_e32 v220, 24, v209
	;;#ASMSTART
	v_cvt_off_f32_i4 v222, v220
	;;#ASMEND
	v_mov_b32_e32 v220, 0
	s_delay_alu instid0(VALU_DEP_1) | instskip(SKIP_4) | instid1(VALU_DEP_1)
	v_cvt_pk_fp8_f32 v220, v221, v222
	v_ashrrev_i32_e32 v221, 4, v209
	;;#ASMSTART
	v_cvt_off_f32_i4 v221, v221
	;;#ASMEND
	v_ashrrev_i32_e32 v222, 20, v209
	;;#ASMSTART
	v_cvt_off_f32_i4 v222, v222
	;;#ASMEND
	v_cvt_pk_fp8_f32 v219, v221, v222 op_sel:[0,0,1]
	v_ashrrev_i32_e32 v221, 12, v209
	;;#ASMSTART
	v_cvt_off_f32_i4 v221, v221
	;;#ASMEND
	v_ashrrev_i32_e32 v209, 28, v209
	;;#ASMSTART
	v_cvt_off_f32_i4 v209, v209
	;;#ASMEND
	s_delay_alu instid0(VALU_DEP_1) | instskip(SKIP_4) | instid1(VALU_DEP_1)
	v_cvt_pk_fp8_f32 v220, v221, v209 op_sel:[0,0,1]
	v_ashrrev_i32_e32 v221, 16, v210
	;;#ASMSTART
	v_cvt_off_f32_i4 v209, v210
	;;#ASMEND
	;;#ASMSTART
	v_cvt_off_f32_i4 v222, v221
	;;#ASMEND
	v_mov_b32_e32 v221, 0
	v_cvt_pk_fp8_f32 v221, v209, v222
	v_ashrrev_i32_e32 v209, 8, v210
	v_ashrrev_i32_e32 v222, 24, v210
	;;#ASMSTART
	v_cvt_off_f32_i4 v209, v209
	;;#ASMEND
	;;#ASMSTART
	v_cvt_off_f32_i4 v223, v222
	;;#ASMEND
	v_mov_b32_e32 v222, 0
	s_delay_alu instid0(VALU_DEP_1) | instskip(SKIP_4) | instid1(VALU_DEP_1)
	v_cvt_pk_fp8_f32 v222, v209, v223
	v_ashrrev_i32_e32 v209, 4, v210
	;;#ASMSTART
	v_cvt_off_f32_i4 v209, v209
	;;#ASMEND
	v_ashrrev_i32_e32 v223, 20, v210
	;;#ASMSTART
	v_cvt_off_f32_i4 v223, v223
	;;#ASMEND
	v_cvt_pk_fp8_f32 v221, v209, v223 op_sel:[0,0,1]
	v_ashrrev_i32_e32 v209, 12, v210
	v_ashrrev_i32_e32 v210, 28, v210
	;;#ASMSTART
	v_cvt_off_f32_i4 v209, v209
	;;#ASMEND
	;;#ASMSTART
	v_cvt_off_f32_i4 v210, v210
	;;#ASMEND
	s_delay_alu instid0(VALU_DEP_1)
	v_cvt_pk_fp8_f32 v222, v209, v210 op_sel:[0,0,1]
	ds_load_b64 v[209:210], v172 offset:16384
	s_wait_dscnt 0x0
	;;#ASMSTART
	v_cvt_off_f32_i4 v224, v209
	;;#ASMEND
	v_ashrrev_i32_e32 v223, 16, v209
	;;#ASMSTART
	v_cvt_off_f32_i4 v225, v223
	;;#ASMEND
	v_mov_b32_e32 v223, 0
	s_delay_alu instid0(VALU_DEP_1)
	v_cvt_pk_fp8_f32 v223, v224, v225
	v_ashrrev_i32_e32 v224, 8, v209
	;;#ASMSTART
	v_cvt_off_f32_i4 v225, v224
	;;#ASMEND
	v_ashrrev_i32_e32 v224, 24, v209
	;;#ASMSTART
	v_cvt_off_f32_i4 v226, v224
	;;#ASMEND
	v_mov_b32_e32 v224, 0
	s_delay_alu instid0(VALU_DEP_1) | instskip(SKIP_4) | instid1(VALU_DEP_1)
	v_cvt_pk_fp8_f32 v224, v225, v226
	v_ashrrev_i32_e32 v225, 4, v209
	;;#ASMSTART
	v_cvt_off_f32_i4 v225, v225
	;;#ASMEND
	v_ashrrev_i32_e32 v226, 20, v209
	;;#ASMSTART
	v_cvt_off_f32_i4 v226, v226
	;;#ASMEND
	v_cvt_pk_fp8_f32 v223, v225, v226 op_sel:[0,0,1]
	v_ashrrev_i32_e32 v225, 12, v209
	;;#ASMSTART
	v_cvt_off_f32_i4 v225, v225
	;;#ASMEND
	v_ashrrev_i32_e32 v209, 28, v209
	;;#ASMSTART
	v_cvt_off_f32_i4 v209, v209
	;;#ASMEND
	s_delay_alu instid0(VALU_DEP_1) | instskip(SKIP_4) | instid1(VALU_DEP_1)
	v_cvt_pk_fp8_f32 v224, v225, v209 op_sel:[0,0,1]
	v_ashrrev_i32_e32 v225, 16, v210
	;;#ASMSTART
	v_cvt_off_f32_i4 v209, v210
	;;#ASMEND
	;;#ASMSTART
	v_cvt_off_f32_i4 v226, v225
	;;#ASMEND
	v_mov_b32_e32 v225, 0
	v_cvt_pk_fp8_f32 v225, v209, v226
	v_ashrrev_i32_e32 v209, 8, v210
	v_ashrrev_i32_e32 v226, 24, v210
	;;#ASMSTART
	v_cvt_off_f32_i4 v209, v209
	;;#ASMEND
	;;#ASMSTART
	v_cvt_off_f32_i4 v227, v226
	;;#ASMEND
	v_mov_b32_e32 v226, 0
	s_delay_alu instid0(VALU_DEP_1) | instskip(SKIP_4) | instid1(VALU_DEP_1)
	v_cvt_pk_fp8_f32 v226, v209, v227
	v_ashrrev_i32_e32 v209, 4, v210
	;;#ASMSTART
	v_cvt_off_f32_i4 v209, v209
	;;#ASMEND
	v_ashrrev_i32_e32 v227, 20, v210
	;;#ASMSTART
	v_cvt_off_f32_i4 v227, v227
	;;#ASMEND
	v_cvt_pk_fp8_f32 v225, v209, v227 op_sel:[0,0,1]
	v_ashrrev_i32_e32 v209, 12, v210
	v_ashrrev_i32_e32 v210, 28, v210
	;;#ASMSTART
	v_cvt_off_f32_i4 v209, v209
	;;#ASMEND
	;;#ASMSTART
	v_cvt_off_f32_i4 v210, v210
	;;#ASMEND
	s_delay_alu instid0(VALU_DEP_1) | instskip(SKIP_3) | instid1(VALU_DEP_1)
	v_cvt_pk_fp8_f32 v226, v209, v210 op_sel:[0,0,1]
	; sched_barrier mask(0x00000000)
	s_barrier_signal -1
	s_barrier_wait -1
	; sched_barrier mask(0x00000000)
	v_wmma_f32_16x16x16_fp8_fp8 v[57:64], v[153:154], v[133:134], v[57:64]
	v_wmma_f32_16x16x16_fp8_fp8 v[57:64], v[155:156], v[135:136], v[57:64]
	; sched_barrier mask(0x00000000)
	s_setprio 1
	; sched_barrier mask(0x00000000)
	v_wmma_f32_16x16x16_fp8_fp8 v[49:56], v[211:212], v[133:134], v[49:56]
	v_wmma_f32_16x16x16_fp8_fp8 v[33:40], v[153:154], v[137:138], v[33:40]
	;; [unrolled: 1-line block ×60, first 2 shown]
	; sched_barrier mask(0x00000000)
	s_wait_dscnt 0x0
	s_barrier_signal -1
	s_barrier_wait -1
	; sched_barrier mask(0x00000000)
	v_wmma_f32_16x16x16_fp8_fp8 v[1:8], v[223:224], v[81:82], v[1:8]
	s_delay_alu instid0(VALU_DEP_1)
	v_wmma_f32_16x16x16_fp8_fp8 v[1:8], v[225:226], v[83:84], v[1:8]
	; sched_barrier mask(0x00000000)
	s_setprio 0
	; sched_barrier mask(0x00000000)
	s_wait_loadcnt 0x7
	ds_store_b128 v203, v[69:72]
	v_add_nc_u32_e32 v69, v203, v191
	s_wait_alu 0xfffe
	v_add_nc_u32_e64 v211, 2, s7
	v_add_nc_u32_e32 v210, v175, v187
	s_wait_loadcnt 0x6
	ds_store_b128 v69, v[65:68] offset:128
	v_add_nc_u32_e32 v65, v69, v194
	s_wait_loadcnt 0x5
	ds_store_b128 v65, v[73:76] offset:128
	v_add_nc_u32_e32 v209, v65, v196
	v_lshrrev_b32_e32 v65, 31, v207
	s_wait_loadcnt 0x4
	ds_store_b128 v209, v[77:80] offset:128
	v_add_nc_u32_e32 v65, v207, v65
	s_delay_alu instid0(VALU_DEP_1) | instskip(SKIP_3) | instid1(VALU_DEP_1)
	v_ashrrev_i32_e32 v65, 1, v65
	s_wait_loadcnt 0x3
	ds_store_b64 v65, v[145:146] offset:16384
	v_add_nc_u32_e32 v65, v207, v199
	v_lshrrev_b32_e32 v66, 31, v65
	s_delay_alu instid0(VALU_DEP_1) | instskip(SKIP_1) | instid1(VALU_DEP_2)
	v_add_nc_u32_e32 v66, v65, v66
	v_add_nc_u32_e32 v65, v65, v200
	v_ashrrev_i32_e32 v66, 1, v66
	s_delay_alu instid0(VALU_DEP_2) | instskip(SKIP_3) | instid1(VALU_DEP_1)
	v_add_nc_u32_e32 v207, v65, v201
	s_wait_loadcnt 0x0
	ds_store_b64 v66, v[151:152] offset:16384
	v_lshrrev_b32_e32 v66, 31, v65
	v_add_nc_u32_e32 v66, v65, v66
	v_lshrrev_b32_e32 v65, 31, v207
	s_delay_alu instid0(VALU_DEP_2) | instskip(NEXT) | instid1(VALU_DEP_2)
	v_ashrrev_i32_e32 v66, 1, v66
	v_add_nc_u32_e32 v65, v207, v65
	ds_store_b64 v66, v[149:150] offset:16384
	v_ashrrev_i32_e32 v65, 1, v65
	v_sub_nc_u32_e32 v66, v186, v179
	ds_store_b64 v65, v[147:148] offset:16384
	v_sub_nc_u32_e32 v65, v211, v206
	v_sub_nc_u32_e32 v67, v66, v174
	;; [unrolled: 1-line block ×3, first 2 shown]
	v_add_nc_u32_e32 v206, v175, v190
	s_delay_alu instid0(VALU_DEP_4) | instskip(NEXT) | instid1(VALU_DEP_4)
	v_mul_lo_u32 v65, v65, s12
	v_lshlrev_b32_e32 v67, 4, v67
	s_delay_alu instid0(VALU_DEP_1) | instskip(SKIP_1) | instid1(VALU_DEP_2)
	v_add3_u32 v65, v65, v208, v67
	v_lshrrev_b32_e32 v67, 31, v208
	v_lshrrev_b32_e32 v68, 31, v65
	s_delay_alu instid0(VALU_DEP_2) | instskip(SKIP_1) | instid1(VALU_DEP_3)
	v_add_nc_u32_e32 v67, v208, v67
	v_add_nc_u32_e32 v208, v175, v189
	;; [unrolled: 1-line block ×4, first 2 shown]
	s_delay_alu instid0(VALU_DEP_4) | instskip(NEXT) | instid1(VALU_DEP_3)
	v_ashrrev_i32_e32 v67, 1, v67
	v_ashrrev_i32_e32 v68, 1, v68
	s_delay_alu instid0(VALU_DEP_3) | instskip(SKIP_1) | instid1(VALU_DEP_1)
	v_lshl_add_u32 v212, v66, 4, v65
	v_lshrrev_b32_e32 v66, 31, v65
	v_add_nc_u32_e32 v65, v65, v66
	s_delay_alu instid0(VALU_DEP_3) | instskip(NEXT) | instid1(VALU_DEP_2)
	v_lshrrev_b32_e32 v66, 31, v212
	v_ashrrev_i32_e32 v65, 1, v65
	s_delay_alu instid0(VALU_DEP_2) | instskip(NEXT) | instid1(VALU_DEP_1)
	v_add_nc_u32_e32 v66, v212, v66
	v_ashrrev_i32_e32 v66, 1, v66
	s_clause 0x3
	buffer_load_b64 v[149:150], v67, s[8:11], null offen
	buffer_load_b64 v[145:146], v68, s[8:11], null offen
	;; [unrolled: 1-line block ×4, first 2 shown]
	s_clause 0x3
	buffer_load_b128 v[77:80], v205, s[0:3], null offen offset:256
	buffer_load_b128 v[73:76], v206, s[0:3], null offen offset:256
	;; [unrolled: 1-line block ×4, first 2 shown]
	s_wait_dscnt 0x0
	s_barrier_signal -1
	s_barrier_wait -1
	ds_load_b64 v[156:157], v188 offset:16384
	ds_load_b128 v[125:128], v195
	ds_load_b128 v[133:136], v183
	ds_load_b128 v[137:140], v183 offset:4096
	ds_load_b128 v[113:116], v195 offset:4096
	;; [unrolled: 1-line block ×9, first 2 shown]
	ds_load_b128 v[109:112], v192
	ds_load_b128 v[121:124], v195 offset:12288
	ds_load_b128 v[93:96], v193
	ds_load_b128 v[101:104], v192 offset:12288
	ds_load_b128 v[81:84], v193 offset:12288
	s_wait_dscnt 0x10
	;;#ASMSTART
	v_cvt_off_f32_i4 v154, v156
	;;#ASMEND
	v_ashrrev_i32_e32 v153, 16, v156
	;;#ASMSTART
	v_cvt_off_f32_i4 v155, v153
	;;#ASMEND
	v_mov_b32_e32 v153, 0
	v_ashrrev_i32_e32 v158, 24, v156
	v_ashrrev_i32_e32 v159, 24, v157
	s_delay_alu instid0(VALU_DEP_3) | instskip(SKIP_4) | instid1(VALU_DEP_1)
	v_cvt_pk_fp8_f32 v153, v154, v155
	v_ashrrev_i32_e32 v154, 8, v156
	;;#ASMSTART
	v_cvt_off_f32_i4 v155, v154
	;;#ASMEND
	v_mov_b32_e32 v154, 0
	;;#ASMSTART
	v_cvt_off_f32_i4 v158, v158
	;;#ASMEND
	v_cvt_pk_fp8_f32 v154, v155, v158
	v_ashrrev_i32_e32 v155, 4, v156
	;;#ASMSTART
	v_cvt_off_f32_i4 v155, v155
	;;#ASMEND
	v_ashrrev_i32_e32 v158, 20, v156
	;;#ASMSTART
	v_cvt_off_f32_i4 v158, v158
	;;#ASMEND
	s_delay_alu instid0(VALU_DEP_1) | instskip(SKIP_4) | instid1(VALU_DEP_1)
	v_cvt_pk_fp8_f32 v153, v155, v158 op_sel:[0,0,1]
	v_ashrrev_i32_e32 v155, 12, v156
	;;#ASMSTART
	v_cvt_off_f32_i4 v155, v155
	;;#ASMEND
	v_ashrrev_i32_e32 v156, 28, v156
	;;#ASMSTART
	v_cvt_off_f32_i4 v156, v156
	;;#ASMEND
	v_cvt_pk_fp8_f32 v154, v155, v156 op_sel:[0,0,1]
	v_ashrrev_i32_e32 v155, 16, v157
	;;#ASMSTART
	v_cvt_off_f32_i4 v156, v157
	;;#ASMEND
	;;#ASMSTART
	v_cvt_off_f32_i4 v158, v155
	;;#ASMEND
	v_mov_b32_e32 v155, 0
	s_delay_alu instid0(VALU_DEP_1) | instskip(SKIP_4) | instid1(VALU_DEP_1)
	v_cvt_pk_fp8_f32 v155, v156, v158
	v_ashrrev_i32_e32 v156, 8, v157
	;;#ASMSTART
	v_cvt_off_f32_i4 v158, v156
	;;#ASMEND
	v_mov_b32_e32 v156, 0
	;;#ASMSTART
	v_cvt_off_f32_i4 v159, v159
	;;#ASMEND
	v_cvt_pk_fp8_f32 v156, v158, v159
	v_ashrrev_i32_e32 v158, 4, v157
	;;#ASMSTART
	v_cvt_off_f32_i4 v158, v158
	;;#ASMEND
	v_ashrrev_i32_e32 v159, 20, v157
	;;#ASMSTART
	v_cvt_off_f32_i4 v159, v159
	;;#ASMEND
	s_delay_alu instid0(VALU_DEP_1)
	v_cvt_pk_fp8_f32 v155, v158, v159 op_sel:[0,0,1]
	v_ashrrev_i32_e32 v158, 12, v157
	v_ashrrev_i32_e32 v157, 28, v157
	;;#ASMSTART
	v_cvt_off_f32_i4 v158, v158
	;;#ASMEND
	;;#ASMSTART
	v_cvt_off_f32_i4 v157, v157
	;;#ASMEND
	ds_load_b64 v[159:160], v185 offset:16384
	v_cvt_pk_fp8_f32 v156, v158, v157 op_sel:[0,0,1]
	s_wait_dscnt 0x0
	;;#ASMSTART
	v_cvt_off_f32_i4 v158, v159
	;;#ASMEND
	v_ashrrev_i32_e32 v157, 16, v159
	;;#ASMSTART
	v_cvt_off_f32_i4 v161, v157
	;;#ASMEND
	v_mov_b32_e32 v157, 0
	v_ashrrev_i32_e32 v162, 24, v159
	v_ashrrev_i32_e32 v163, 24, v160
	s_delay_alu instid0(VALU_DEP_3) | instskip(SKIP_4) | instid1(VALU_DEP_1)
	v_cvt_pk_fp8_f32 v157, v158, v161
	v_ashrrev_i32_e32 v158, 8, v159
	;;#ASMSTART
	v_cvt_off_f32_i4 v161, v158
	;;#ASMEND
	v_mov_b32_e32 v158, 0
	;;#ASMSTART
	v_cvt_off_f32_i4 v162, v162
	;;#ASMEND
	v_cvt_pk_fp8_f32 v158, v161, v162
	v_ashrrev_i32_e32 v161, 4, v159
	;;#ASMSTART
	v_cvt_off_f32_i4 v161, v161
	;;#ASMEND
	v_ashrrev_i32_e32 v162, 20, v159
	;;#ASMSTART
	v_cvt_off_f32_i4 v162, v162
	;;#ASMEND
	s_delay_alu instid0(VALU_DEP_1) | instskip(SKIP_4) | instid1(VALU_DEP_1)
	v_cvt_pk_fp8_f32 v157, v161, v162 op_sel:[0,0,1]
	v_ashrrev_i32_e32 v161, 12, v159
	;;#ASMSTART
	v_cvt_off_f32_i4 v161, v161
	;;#ASMEND
	v_ashrrev_i32_e32 v159, 28, v159
	;;#ASMSTART
	v_cvt_off_f32_i4 v159, v159
	;;#ASMEND
	v_cvt_pk_fp8_f32 v158, v161, v159 op_sel:[0,0,1]
	v_mov_b32_e32 v161, 0
	v_ashrrev_i32_e32 v159, 16, v160
	;;#ASMSTART
	v_cvt_off_f32_i4 v162, v160
	;;#ASMEND
	;;#ASMSTART
	v_cvt_off_f32_i4 v159, v159
	;;#ASMEND
	s_delay_alu instid0(VALU_DEP_1) | instskip(SKIP_4) | instid1(VALU_DEP_1)
	v_cvt_pk_fp8_f32 v161, v162, v159
	v_mov_b32_e32 v162, 0
	v_ashrrev_i32_e32 v159, 8, v160
	;;#ASMSTART
	v_cvt_off_f32_i4 v159, v159
	;;#ASMEND
	;;#ASMSTART
	v_cvt_off_f32_i4 v163, v163
	;;#ASMEND
	v_cvt_pk_fp8_f32 v162, v159, v163
	v_ashrrev_i32_e32 v159, 4, v160
	;;#ASMSTART
	v_cvt_off_f32_i4 v159, v159
	;;#ASMEND
	v_ashrrev_i32_e32 v163, 20, v160
	;;#ASMSTART
	v_cvt_off_f32_i4 v163, v163
	;;#ASMEND
	s_delay_alu instid0(VALU_DEP_1)
	v_cvt_pk_fp8_f32 v161, v159, v163 op_sel:[0,0,1]
	v_ashrrev_i32_e32 v159, 12, v160
	v_ashrrev_i32_e32 v160, 28, v160
	;;#ASMSTART
	v_cvt_off_f32_i4 v159, v159
	;;#ASMEND
	;;#ASMSTART
	v_cvt_off_f32_i4 v160, v160
	;;#ASMEND
	ds_load_b64 v[164:165], v182 offset:16384
	v_cvt_pk_fp8_f32 v162, v159, v160 op_sel:[0,0,1]
	s_wait_dscnt 0x0
	;;#ASMSTART
	v_cvt_off_f32_i4 v160, v164
	;;#ASMEND
	v_ashrrev_i32_e32 v159, 16, v164
	;;#ASMSTART
	v_cvt_off_f32_i4 v163, v159
	;;#ASMEND
	v_mov_b32_e32 v159, 0
	v_ashrrev_i32_e32 v166, 24, v164
	v_ashrrev_i32_e32 v167, 24, v165
	s_delay_alu instid0(VALU_DEP_3) | instskip(SKIP_4) | instid1(VALU_DEP_1)
	v_cvt_pk_fp8_f32 v159, v160, v163
	v_ashrrev_i32_e32 v160, 8, v164
	;;#ASMSTART
	v_cvt_off_f32_i4 v163, v160
	;;#ASMEND
	v_mov_b32_e32 v160, 0
	;;#ASMSTART
	v_cvt_off_f32_i4 v166, v166
	;;#ASMEND
	v_cvt_pk_fp8_f32 v160, v163, v166
	v_ashrrev_i32_e32 v163, 4, v164
	;;#ASMSTART
	v_cvt_off_f32_i4 v163, v163
	;;#ASMEND
	v_ashrrev_i32_e32 v166, 20, v164
	;;#ASMSTART
	v_cvt_off_f32_i4 v166, v166
	;;#ASMEND
	s_delay_alu instid0(VALU_DEP_1) | instskip(SKIP_4) | instid1(VALU_DEP_1)
	v_cvt_pk_fp8_f32 v159, v163, v166 op_sel:[0,0,1]
	v_ashrrev_i32_e32 v163, 12, v164
	;;#ASMSTART
	v_cvt_off_f32_i4 v163, v163
	;;#ASMEND
	v_ashrrev_i32_e32 v164, 28, v164
	;;#ASMSTART
	v_cvt_off_f32_i4 v164, v164
	;;#ASMEND
	v_cvt_pk_fp8_f32 v160, v163, v164 op_sel:[0,0,1]
	v_ashrrev_i32_e32 v163, 16, v165
	;;#ASMSTART
	v_cvt_off_f32_i4 v164, v165
	;;#ASMEND
	;;#ASMSTART
	v_cvt_off_f32_i4 v166, v163
	;;#ASMEND
	v_mov_b32_e32 v163, 0
	s_delay_alu instid0(VALU_DEP_1) | instskip(SKIP_4) | instid1(VALU_DEP_1)
	v_cvt_pk_fp8_f32 v163, v164, v166
	v_ashrrev_i32_e32 v164, 8, v165
	;;#ASMSTART
	v_cvt_off_f32_i4 v166, v164
	;;#ASMEND
	v_mov_b32_e32 v164, 0
	;;#ASMSTART
	v_cvt_off_f32_i4 v167, v167
	;;#ASMEND
	v_cvt_pk_fp8_f32 v164, v166, v167
	v_ashrrev_i32_e32 v166, 4, v165
	;;#ASMSTART
	v_cvt_off_f32_i4 v166, v166
	;;#ASMEND
	v_ashrrev_i32_e32 v167, 20, v165
	;;#ASMSTART
	v_cvt_off_f32_i4 v167, v167
	;;#ASMEND
	s_delay_alu instid0(VALU_DEP_1)
	v_cvt_pk_fp8_f32 v163, v166, v167 op_sel:[0,0,1]
	v_ashrrev_i32_e32 v166, 12, v165
	v_ashrrev_i32_e32 v165, 28, v165
	;;#ASMSTART
	v_cvt_off_f32_i4 v166, v166
	;;#ASMEND
	;;#ASMSTART
	v_cvt_off_f32_i4 v165, v165
	;;#ASMEND
	ds_load_b64 v[213:214], v181 offset:16384
	v_cvt_pk_fp8_f32 v164, v166, v165 op_sel:[0,0,1]
	s_wait_dscnt 0x0
	;;#ASMSTART
	v_cvt_off_f32_i4 v166, v213
	;;#ASMEND
	v_ashrrev_i32_e32 v165, 16, v213
	;;#ASMSTART
	v_cvt_off_f32_i4 v167, v165
	;;#ASMEND
	v_mov_b32_e32 v165, 0
	v_ashrrev_i32_e32 v168, 24, v213
	v_ashrrev_i32_e32 v215, 24, v214
	s_delay_alu instid0(VALU_DEP_3)
	v_cvt_pk_fp8_f32 v165, v166, v167
	v_ashrrev_i32_e32 v166, 8, v213
	;;#ASMSTART
	v_cvt_off_f32_i4 v167, v166
	;;#ASMEND
	v_mov_b32_e32 v166, 0
	;;#ASMSTART
	v_cvt_off_f32_i4 v168, v168
	;;#ASMEND
	v_add_nc_u32_e32 v207, v207, v202
	s_delay_alu instid0(VALU_DEP_2) | instskip(SKIP_4) | instid1(VALU_DEP_1)
	v_cvt_pk_fp8_f32 v166, v167, v168
	v_ashrrev_i32_e32 v167, 4, v213
	;;#ASMSTART
	v_cvt_off_f32_i4 v167, v167
	;;#ASMEND
	v_ashrrev_i32_e32 v168, 20, v213
	;;#ASMSTART
	v_cvt_off_f32_i4 v168, v168
	;;#ASMEND
	v_cvt_pk_fp8_f32 v165, v167, v168 op_sel:[0,0,1]
	v_ashrrev_i32_e32 v167, 12, v213
	;;#ASMSTART
	v_cvt_off_f32_i4 v167, v167
	;;#ASMEND
	v_ashrrev_i32_e32 v168, 28, v213
	;;#ASMSTART
	v_cvt_off_f32_i4 v168, v168
	;;#ASMEND
	s_delay_alu instid0(VALU_DEP_1) | instskip(SKIP_4) | instid1(VALU_DEP_1)
	v_cvt_pk_fp8_f32 v166, v167, v168 op_sel:[0,0,1]
	v_ashrrev_i32_e32 v167, 16, v214
	;;#ASMSTART
	v_cvt_off_f32_i4 v168, v214
	;;#ASMEND
	;;#ASMSTART
	v_cvt_off_f32_i4 v213, v167
	;;#ASMEND
	v_mov_b32_e32 v167, 0
	v_cvt_pk_fp8_f32 v167, v168, v213
	v_ashrrev_i32_e32 v168, 8, v214
	;;#ASMSTART
	v_cvt_off_f32_i4 v213, v168
	;;#ASMEND
	v_mov_b32_e32 v168, 0
	;;#ASMSTART
	v_cvt_off_f32_i4 v215, v215
	;;#ASMEND
	s_delay_alu instid0(VALU_DEP_1) | instskip(SKIP_4) | instid1(VALU_DEP_1)
	v_cvt_pk_fp8_f32 v168, v213, v215
	v_ashrrev_i32_e32 v213, 4, v214
	;;#ASMSTART
	v_cvt_off_f32_i4 v213, v213
	;;#ASMEND
	v_ashrrev_i32_e32 v215, 20, v214
	;;#ASMSTART
	v_cvt_off_f32_i4 v215, v215
	;;#ASMEND
	v_cvt_pk_fp8_f32 v167, v213, v215 op_sel:[0,0,1]
	v_ashrrev_i32_e32 v213, 12, v214
	v_ashrrev_i32_e32 v214, 28, v214
	;;#ASMSTART
	v_cvt_off_f32_i4 v213, v213
	;;#ASMEND
	;;#ASMSTART
	v_cvt_off_f32_i4 v214, v214
	;;#ASMEND
	s_delay_alu instid0(VALU_DEP_1)
	v_cvt_pk_fp8_f32 v168, v213, v214 op_sel:[0,0,1]
	ds_load_b64 v[213:214], v178 offset:16384
	s_wait_dscnt 0x0
	;;#ASMSTART
	v_cvt_off_f32_i4 v216, v213
	;;#ASMEND
	v_ashrrev_i32_e32 v215, 16, v213
	;;#ASMSTART
	v_cvt_off_f32_i4 v217, v215
	;;#ASMEND
	v_mov_b32_e32 v215, 0
	v_ashrrev_i32_e32 v218, 24, v213
	v_ashrrev_i32_e32 v219, 24, v214
	s_delay_alu instid0(VALU_DEP_3) | instskip(SKIP_4) | instid1(VALU_DEP_1)
	v_cvt_pk_fp8_f32 v215, v216, v217
	v_ashrrev_i32_e32 v216, 8, v213
	;;#ASMSTART
	v_cvt_off_f32_i4 v217, v216
	;;#ASMEND
	v_mov_b32_e32 v216, 0
	;;#ASMSTART
	v_cvt_off_f32_i4 v218, v218
	;;#ASMEND
	v_cvt_pk_fp8_f32 v216, v217, v218
	v_ashrrev_i32_e32 v217, 4, v213
	;;#ASMSTART
	v_cvt_off_f32_i4 v217, v217
	;;#ASMEND
	v_ashrrev_i32_e32 v218, 20, v213
	;;#ASMSTART
	v_cvt_off_f32_i4 v218, v218
	;;#ASMEND
	s_delay_alu instid0(VALU_DEP_1) | instskip(SKIP_4) | instid1(VALU_DEP_1)
	v_cvt_pk_fp8_f32 v215, v217, v218 op_sel:[0,0,1]
	v_ashrrev_i32_e32 v217, 12, v213
	;;#ASMSTART
	v_cvt_off_f32_i4 v217, v217
	;;#ASMEND
	v_ashrrev_i32_e32 v213, 28, v213
	;;#ASMSTART
	v_cvt_off_f32_i4 v213, v213
	;;#ASMEND
	v_cvt_pk_fp8_f32 v216, v217, v213 op_sel:[0,0,1]
	v_mov_b32_e32 v217, 0
	v_ashrrev_i32_e32 v213, 16, v214
	;;#ASMSTART
	v_cvt_off_f32_i4 v218, v214
	;;#ASMEND
	;;#ASMSTART
	v_cvt_off_f32_i4 v213, v213
	;;#ASMEND
	s_delay_alu instid0(VALU_DEP_1) | instskip(SKIP_4) | instid1(VALU_DEP_1)
	v_cvt_pk_fp8_f32 v217, v218, v213
	v_mov_b32_e32 v218, 0
	v_ashrrev_i32_e32 v213, 8, v214
	;;#ASMSTART
	v_cvt_off_f32_i4 v213, v213
	;;#ASMEND
	;;#ASMSTART
	v_cvt_off_f32_i4 v219, v219
	;;#ASMEND
	v_cvt_pk_fp8_f32 v218, v213, v219
	v_ashrrev_i32_e32 v213, 4, v214
	;;#ASMSTART
	v_cvt_off_f32_i4 v213, v213
	;;#ASMEND
	v_ashrrev_i32_e32 v219, 20, v214
	;;#ASMSTART
	v_cvt_off_f32_i4 v219, v219
	;;#ASMEND
	s_delay_alu instid0(VALU_DEP_1) | instskip(SKIP_4) | instid1(VALU_DEP_1)
	v_cvt_pk_fp8_f32 v217, v213, v219 op_sel:[0,0,1]
	v_ashrrev_i32_e32 v213, 12, v214
	v_ashrrev_i32_e32 v214, 28, v214
	;;#ASMSTART
	v_cvt_off_f32_i4 v213, v213
	;;#ASMEND
	;;#ASMSTART
	v_cvt_off_f32_i4 v214, v214
	;;#ASMEND
	v_cvt_pk_fp8_f32 v218, v213, v214 op_sel:[0,0,1]
	ds_load_b64 v[213:214], v177 offset:16384
	s_wait_dscnt 0x0
	;;#ASMSTART
	v_cvt_off_f32_i4 v220, v213
	;;#ASMEND
	v_ashrrev_i32_e32 v219, 16, v213
	;;#ASMSTART
	v_cvt_off_f32_i4 v221, v219
	;;#ASMEND
	v_mov_b32_e32 v219, 0
	v_ashrrev_i32_e32 v222, 24, v213
	v_ashrrev_i32_e32 v223, 24, v214
	s_delay_alu instid0(VALU_DEP_3) | instskip(SKIP_4) | instid1(VALU_DEP_1)
	v_cvt_pk_fp8_f32 v219, v220, v221
	v_ashrrev_i32_e32 v220, 8, v213
	;;#ASMSTART
	v_cvt_off_f32_i4 v221, v220
	;;#ASMEND
	v_mov_b32_e32 v220, 0
	;;#ASMSTART
	v_cvt_off_f32_i4 v222, v222
	;;#ASMEND
	v_cvt_pk_fp8_f32 v220, v221, v222
	v_ashrrev_i32_e32 v221, 4, v213
	;;#ASMSTART
	v_cvt_off_f32_i4 v221, v221
	;;#ASMEND
	v_ashrrev_i32_e32 v222, 20, v213
	;;#ASMSTART
	v_cvt_off_f32_i4 v222, v222
	;;#ASMEND
	s_delay_alu instid0(VALU_DEP_1) | instskip(SKIP_4) | instid1(VALU_DEP_1)
	v_cvt_pk_fp8_f32 v219, v221, v222 op_sel:[0,0,1]
	v_ashrrev_i32_e32 v221, 12, v213
	;;#ASMSTART
	v_cvt_off_f32_i4 v221, v221
	;;#ASMEND
	v_ashrrev_i32_e32 v213, 28, v213
	;;#ASMSTART
	v_cvt_off_f32_i4 v213, v213
	;;#ASMEND
	v_cvt_pk_fp8_f32 v220, v221, v213 op_sel:[0,0,1]
	v_mov_b32_e32 v221, 0
	v_ashrrev_i32_e32 v213, 16, v214
	;;#ASMSTART
	v_cvt_off_f32_i4 v222, v214
	;;#ASMEND
	;;#ASMSTART
	v_cvt_off_f32_i4 v213, v213
	;;#ASMEND
	s_delay_alu instid0(VALU_DEP_1) | instskip(SKIP_4) | instid1(VALU_DEP_1)
	v_cvt_pk_fp8_f32 v221, v222, v213
	v_mov_b32_e32 v222, 0
	v_ashrrev_i32_e32 v213, 8, v214
	;;#ASMSTART
	v_cvt_off_f32_i4 v213, v213
	;;#ASMEND
	;;#ASMSTART
	v_cvt_off_f32_i4 v223, v223
	;;#ASMEND
	v_cvt_pk_fp8_f32 v222, v213, v223
	v_ashrrev_i32_e32 v213, 4, v214
	;;#ASMSTART
	v_cvt_off_f32_i4 v213, v213
	;;#ASMEND
	v_ashrrev_i32_e32 v223, 20, v214
	;;#ASMSTART
	v_cvt_off_f32_i4 v223, v223
	;;#ASMEND
	s_delay_alu instid0(VALU_DEP_1) | instskip(SKIP_4) | instid1(VALU_DEP_1)
	v_cvt_pk_fp8_f32 v221, v213, v223 op_sel:[0,0,1]
	v_ashrrev_i32_e32 v213, 12, v214
	v_ashrrev_i32_e32 v214, 28, v214
	;;#ASMSTART
	v_cvt_off_f32_i4 v213, v213
	;;#ASMEND
	;;#ASMSTART
	v_cvt_off_f32_i4 v214, v214
	;;#ASMEND
	v_cvt_pk_fp8_f32 v222, v213, v214 op_sel:[0,0,1]
	ds_load_b64 v[213:214], v176 offset:16384
	s_wait_dscnt 0x0
	;;#ASMSTART
	v_cvt_off_f32_i4 v224, v213
	;;#ASMEND
	v_ashrrev_i32_e32 v223, 16, v213
	;;#ASMSTART
	v_cvt_off_f32_i4 v225, v223
	;;#ASMEND
	v_mov_b32_e32 v223, 0
	v_ashrrev_i32_e32 v226, 24, v213
	v_ashrrev_i32_e32 v227, 24, v214
	s_delay_alu instid0(VALU_DEP_3) | instskip(SKIP_4) | instid1(VALU_DEP_1)
	v_cvt_pk_fp8_f32 v223, v224, v225
	v_ashrrev_i32_e32 v224, 8, v213
	;;#ASMSTART
	v_cvt_off_f32_i4 v225, v224
	;;#ASMEND
	v_mov_b32_e32 v224, 0
	;;#ASMSTART
	v_cvt_off_f32_i4 v226, v226
	;;#ASMEND
	v_cvt_pk_fp8_f32 v224, v225, v226
	v_ashrrev_i32_e32 v225, 4, v213
	;;#ASMSTART
	v_cvt_off_f32_i4 v225, v225
	;;#ASMEND
	v_ashrrev_i32_e32 v226, 20, v213
	;;#ASMSTART
	v_cvt_off_f32_i4 v226, v226
	;;#ASMEND
	s_delay_alu instid0(VALU_DEP_1) | instskip(SKIP_4) | instid1(VALU_DEP_1)
	v_cvt_pk_fp8_f32 v223, v225, v226 op_sel:[0,0,1]
	v_ashrrev_i32_e32 v225, 12, v213
	;;#ASMSTART
	v_cvt_off_f32_i4 v225, v225
	;;#ASMEND
	v_ashrrev_i32_e32 v213, 28, v213
	;;#ASMSTART
	v_cvt_off_f32_i4 v213, v213
	;;#ASMEND
	v_cvt_pk_fp8_f32 v224, v225, v213 op_sel:[0,0,1]
	v_mov_b32_e32 v225, 0
	v_ashrrev_i32_e32 v213, 16, v214
	;;#ASMSTART
	v_cvt_off_f32_i4 v226, v214
	;;#ASMEND
	;;#ASMSTART
	v_cvt_off_f32_i4 v213, v213
	;;#ASMEND
	s_delay_alu instid0(VALU_DEP_1) | instskip(SKIP_4) | instid1(VALU_DEP_1)
	v_cvt_pk_fp8_f32 v225, v226, v213
	v_mov_b32_e32 v226, 0
	v_ashrrev_i32_e32 v213, 8, v214
	;;#ASMSTART
	v_cvt_off_f32_i4 v213, v213
	;;#ASMEND
	;;#ASMSTART
	v_cvt_off_f32_i4 v227, v227
	;;#ASMEND
	v_cvt_pk_fp8_f32 v226, v213, v227
	v_ashrrev_i32_e32 v213, 4, v214
	;;#ASMSTART
	v_cvt_off_f32_i4 v213, v213
	;;#ASMEND
	v_ashrrev_i32_e32 v227, 20, v214
	;;#ASMSTART
	v_cvt_off_f32_i4 v227, v227
	;;#ASMEND
	s_delay_alu instid0(VALU_DEP_1) | instskip(SKIP_4) | instid1(VALU_DEP_1)
	v_cvt_pk_fp8_f32 v225, v213, v227 op_sel:[0,0,1]
	v_ashrrev_i32_e32 v213, 12, v214
	v_ashrrev_i32_e32 v214, 28, v214
	;;#ASMSTART
	v_cvt_off_f32_i4 v213, v213
	;;#ASMEND
	;;#ASMSTART
	v_cvt_off_f32_i4 v214, v214
	;;#ASMEND
	v_cvt_pk_fp8_f32 v226, v213, v214 op_sel:[0,0,1]
	ds_load_b64 v[213:214], v172 offset:16384
	s_wait_dscnt 0x0
	;;#ASMSTART
	v_cvt_off_f32_i4 v228, v213
	;;#ASMEND
	v_ashrrev_i32_e32 v227, 16, v213
	;;#ASMSTART
	v_cvt_off_f32_i4 v229, v227
	;;#ASMEND
	v_mov_b32_e32 v227, 0
	v_ashrrev_i32_e32 v230, 24, v213
	v_ashrrev_i32_e32 v231, 24, v214
	s_delay_alu instid0(VALU_DEP_3) | instskip(SKIP_4) | instid1(VALU_DEP_1)
	v_cvt_pk_fp8_f32 v227, v228, v229
	v_ashrrev_i32_e32 v228, 8, v213
	;;#ASMSTART
	v_cvt_off_f32_i4 v229, v228
	;;#ASMEND
	v_mov_b32_e32 v228, 0
	;;#ASMSTART
	v_cvt_off_f32_i4 v230, v230
	;;#ASMEND
	v_cvt_pk_fp8_f32 v228, v229, v230
	v_ashrrev_i32_e32 v229, 4, v213
	;;#ASMSTART
	v_cvt_off_f32_i4 v229, v229
	;;#ASMEND
	v_ashrrev_i32_e32 v230, 20, v213
	;;#ASMSTART
	v_cvt_off_f32_i4 v230, v230
	;;#ASMEND
	s_delay_alu instid0(VALU_DEP_1) | instskip(SKIP_4) | instid1(VALU_DEP_1)
	v_cvt_pk_fp8_f32 v227, v229, v230 op_sel:[0,0,1]
	v_ashrrev_i32_e32 v229, 12, v213
	;;#ASMSTART
	v_cvt_off_f32_i4 v229, v229
	;;#ASMEND
	v_ashrrev_i32_e32 v213, 28, v213
	;;#ASMSTART
	v_cvt_off_f32_i4 v213, v213
	;;#ASMEND
	v_cvt_pk_fp8_f32 v228, v229, v213 op_sel:[0,0,1]
	v_mov_b32_e32 v229, 0
	v_ashrrev_i32_e32 v213, 16, v214
	;;#ASMSTART
	v_cvt_off_f32_i4 v230, v214
	;;#ASMEND
	;;#ASMSTART
	v_cvt_off_f32_i4 v213, v213
	;;#ASMEND
	s_delay_alu instid0(VALU_DEP_1) | instskip(SKIP_4) | instid1(VALU_DEP_1)
	v_cvt_pk_fp8_f32 v229, v230, v213
	v_mov_b32_e32 v230, 0
	v_ashrrev_i32_e32 v213, 8, v214
	;;#ASMSTART
	v_cvt_off_f32_i4 v213, v213
	;;#ASMEND
	;;#ASMSTART
	v_cvt_off_f32_i4 v231, v231
	;;#ASMEND
	v_cvt_pk_fp8_f32 v230, v213, v231
	v_ashrrev_i32_e32 v213, 4, v214
	;;#ASMSTART
	v_cvt_off_f32_i4 v213, v213
	;;#ASMEND
	v_ashrrev_i32_e32 v231, 20, v214
	;;#ASMSTART
	v_cvt_off_f32_i4 v231, v231
	;;#ASMEND
	s_delay_alu instid0(VALU_DEP_1) | instskip(SKIP_4) | instid1(VALU_DEP_1)
	v_cvt_pk_fp8_f32 v229, v213, v231 op_sel:[0,0,1]
	v_ashrrev_i32_e32 v213, 12, v214
	v_ashrrev_i32_e32 v214, 28, v214
	;;#ASMSTART
	v_cvt_off_f32_i4 v213, v213
	;;#ASMEND
	;;#ASMSTART
	v_cvt_off_f32_i4 v214, v214
	;;#ASMEND
	v_cvt_pk_fp8_f32 v230, v213, v214 op_sel:[0,0,1]
	v_add_nc_u32_e64 v213, 3, s7
	s_delay_alu instid0(VALU_DEP_1) | instskip(NEXT) | instid1(VALU_DEP_1)
	v_sub_nc_u32_e32 v211, v213, v211
	v_mul_lo_u32 v211, v211, s12
	s_delay_alu instid0(VALU_DEP_1) | instskip(SKIP_3) | instid1(VALU_DEP_1)
	v_add3_u32 v211, v211, v212, 0xffffff80
	; sched_barrier mask(0x00000000)
	s_barrier_signal -1
	s_barrier_wait -1
	; sched_barrier mask(0x00000000)
	v_wmma_f32_16x16x16_fp8_fp8 v[57:64], v[153:154], v[133:134], v[57:64]
	v_wmma_f32_16x16x16_fp8_fp8 v[57:64], v[155:156], v[135:136], v[57:64]
	; sched_barrier mask(0x00000000)
	s_setprio 1
	; sched_barrier mask(0x00000000)
	v_wmma_f32_16x16x16_fp8_fp8 v[49:56], v[215:216], v[133:134], v[49:56]
	v_wmma_f32_16x16x16_fp8_fp8 v[33:40], v[153:154], v[137:138], v[33:40]
	;; [unrolled: 1-line block ×60, first 2 shown]
	; sched_barrier mask(0x00000000)
	s_wait_dscnt 0x0
	s_barrier_signal -1
	s_barrier_wait -1
	; sched_barrier mask(0x00000000)
	v_wmma_f32_16x16x16_fp8_fp8 v[1:8], v[227:228], v[81:82], v[1:8]
	s_delay_alu instid0(VALU_DEP_1)
	v_wmma_f32_16x16x16_fp8_fp8 v[1:8], v[229:230], v[83:84], v[1:8]
	; sched_barrier mask(0x00000000)
	s_setprio 0
	; sched_barrier mask(0x00000000)
	v_add_nc_u32_e32 v81, v209, v197
	v_sub_nc_u32_e32 v83, v213, v213
	v_add_nc_u32_e32 v184, 16, v184
	v_add_nc_u32_e32 v203, v203, v204
	;; [unrolled: 1-line block ×3, first 2 shown]
	s_wait_loadcnt 0x3
	ds_store_b128 v81, v[77:80] offset:128
	v_add_nc_u32_e32 v77, v81, v191
	v_add_nc_u32_e32 v186, 16, v186
	;; [unrolled: 1-line block ×5, first 2 shown]
	s_wait_loadcnt 0x2
	ds_store_b128 v77, v[73:76] offset:256
	v_add3_u32 v73, v81, v198, v194
	v_lshrrev_b32_e32 v81, 31, v211
	v_add_nc_u32_e32 v173, 0x100, v173
	s_wait_loadcnt 0x1
	ds_store_b128 v73, v[69:72] offset:128
	v_add_nc_u32_e32 v69, v73, v196
	v_add_nc_u32_e32 v81, v211, v81
	s_wait_loadcnt 0x0
	ds_store_b128 v69, v[65:68] offset:128
	v_lshrrev_b32_e32 v65, 31, v207
	v_and_b32_e32 v68, 0xff00, v148
	v_and_b32_e32 v69, 0xff000000, v147
	v_ashrrev_i32_e32 v81, 1, v81
	s_delay_alu instid0(VALU_DEP_4) | instskip(NEXT) | instid1(VALU_DEP_1)
	v_add_nc_u32_e32 v65, v207, v65
	v_ashrrev_i32_e32 v65, 1, v65
	ds_store_b64 v65, v[149:150] offset:16384
	v_add_nc_u32_e32 v65, v207, v199
	s_delay_alu instid0(VALU_DEP_1) | instskip(SKIP_1) | instid1(VALU_DEP_2)
	v_lshrrev_b32_e32 v66, 31, v65
	v_add_nc_u32_e32 v67, v65, v200
	v_add_nc_u32_e32 v66, v65, v66
	v_and_b32_e32 v65, 0xffff0000, v148
	s_delay_alu instid0(VALU_DEP_2) | instskip(SKIP_2) | instid1(VALU_DEP_1)
	v_ashrrev_i32_e32 v66, 1, v66
	ds_store_b64 v66, v[151:152] offset:16384
	v_and_b32_e32 v66, 0xff, v148
	v_or3_b32 v65, v68, v65, v66
	v_and_b32_e32 v68, 0xff0000, v147
	s_delay_alu instid0(VALU_DEP_2) | instskip(NEXT) | instid1(VALU_DEP_2)
	v_or3_b32 v66, v65, 0, 0
	v_or3_b32 v65, v180, v69, v68
	v_and_b32_e32 v68, 0xff, v147
	s_delay_alu instid0(VALU_DEP_2) | instskip(NEXT) | instid1(VALU_DEP_1)
	v_and_or_b32 v65, 0xff00, v147, v65
	v_or_b32_e32 v65, v65, v68
	v_lshrrev_b32_e32 v68, 31, v67
	s_delay_alu instid0(VALU_DEP_1) | instskip(NEXT) | instid1(VALU_DEP_1)
	v_add_nc_u32_e32 v68, v67, v68
	v_ashrrev_i32_e32 v68, 1, v68
	ds_store_b64 v68, v[65:66] offset:16384
	v_add_nc_u32_e32 v65, v67, v201
	s_delay_alu instid0(VALU_DEP_1) | instskip(SKIP_1) | instid1(VALU_DEP_2)
	v_lshrrev_b32_e32 v66, 31, v65
	v_add_nc_u32_e32 v207, v65, v202
	v_add_nc_u32_e32 v66, v65, v66
	s_delay_alu instid0(VALU_DEP_1)
	v_ashrrev_i32_e32 v66, 1, v66
	ds_store_b64 v66, v[145:146] offset:16384
	s_clause 0x3
	buffer_load_b128 v[69:72], v205, s[0:3], null offen offset:384
	buffer_load_b128 v[65:68], v206, s[0:3], null offen offset:384
	;; [unrolled: 1-line block ×4, first 2 shown]
	buffer_load_b64 v[145:146], v81, s[8:11], null offen
	v_mad_co_u64_u32 v[81:82], null, v83, s12, v[211:212]
	v_lshrrev_b32_e32 v206, 3, v184
	s_delay_alu instid0(VALU_DEP_2) | instskip(SKIP_1) | instid1(VALU_DEP_2)
	v_add_nc_u32_e32 v82, 16, v81
	v_add_nc_u32_e32 v81, 0x90, v81
	v_lshrrev_b32_e32 v84, 31, v82
	s_delay_alu instid0(VALU_DEP_1) | instskip(NEXT) | instid1(VALU_DEP_1)
	v_add_nc_u32_e32 v82, v82, v84
	v_ashrrev_i32_e32 v82, 1, v82
	buffer_load_b64 v[147:148], v82, s[8:11], null offen
	v_lshrrev_b32_e32 v82, 31, v81
	s_delay_alu instid0(VALU_DEP_1) | instskip(NEXT) | instid1(VALU_DEP_1)
	v_add_nc_u32_e32 v82, v81, v82
	v_ashrrev_i32_e32 v82, 1, v82
	buffer_load_b64 v[149:150], v82, s[8:11], null offen
	v_mul_lo_u32 v82, v83, s12
	s_delay_alu instid0(VALU_DEP_1) | instskip(NEXT) | instid1(VALU_DEP_1)
	v_add3_u32 v81, v82, v81, -16
	v_lshrrev_b32_e32 v82, 31, v81
	s_delay_alu instid0(VALU_DEP_1) | instskip(NEXT) | instid1(VALU_DEP_1)
	v_add_nc_u32_e32 v82, v81, v82
	v_ashrrev_i32_e32 v82, 1, v82
	buffer_load_b64 v[151:152], v82, s[8:11], null offen
	v_add_nc_u32_e64 v82, 4, s7
	s_add_co_i32 s7, s7, 2
	s_wait_alu 0xfffe
	s_cmp_lt_i32 s7, s13
	s_delay_alu instid0(VALU_DEP_1) | instskip(NEXT) | instid1(VALU_DEP_1)
	v_sub_nc_u32_e32 v82, v82, v213
	v_mul_lo_u32 v82, v82, s12
	s_delay_alu instid0(VALU_DEP_1)
	v_add3_u32 v208, v82, v81, 0xffffff80
	s_cbranch_scc1 .LBB7_12
; %bb.13:
	s_wait_dscnt 0x0
	s_barrier_signal -1
	s_barrier_wait -1
	ds_load_b64 v[129:130], v188 offset:16384
	ds_load_b128 v[109:112], v195
	ds_load_b128 v[121:124], v183
	ds_load_b128 v[117:120], v183 offset:4096
	ds_load_b128 v[101:104], v195 offset:4096
	;; [unrolled: 1-line block ×5, first 2 shown]
	s_wait_loadcnt 0x5
	ds_load_b128 v[73:76], v193 offset:4096
	ds_load_b128 v[69:72], v193 offset:8192
	;; [unrolled: 1-line block ×4, first 2 shown]
	ds_load_b128 v[93:96], v192
	ds_load_b128 v[105:108], v195 offset:12288
	s_wait_loadcnt 0x4
	ds_load_b128 v[77:80], v193
	ds_load_b128 v[85:88], v192 offset:12288
	ds_load_b128 v[65:68], v193 offset:12288
	s_wait_dscnt 0x10
	;;#ASMSTART
	v_cvt_off_f32_i4 v135, v129
	;;#ASMEND
	v_ashrrev_i32_e32 v131, 16, v129
	v_ashrrev_i32_e32 v132, 8, v129
	v_ashrrev_i32_e32 v133, 24, v129
	;;#ASMSTART
	v_cvt_off_f32_i4 v136, v131
	;;#ASMEND
	v_ashrrev_i32_e32 v131, 20, v129
	v_ashrrev_i32_e32 v134, 4, v129
	;;#ASMSTART
	v_cvt_off_f32_i4 v137, v132
	;;#ASMEND
	;;#ASMSTART
	v_cvt_off_f32_i4 v138, v133
	;;#ASMEND
	;; [unrolled: 3-line block ×3, first 2 shown]
	v_ashrrev_i32_e32 v132, 12, v129
	v_ashrrev_i32_e32 v129, 28, v129
	;;#ASMSTART
	v_cvt_off_f32_i4 v140, v131
	;;#ASMEND
	v_ashrrev_i32_e32 v131, 16, v130
	v_ashrrev_i32_e32 v133, 8, v130
	;;#ASMSTART
	v_cvt_off_f32_i4 v141, v132
	;;#ASMEND
	;;#ASMSTART
	v_cvt_off_f32_i4 v142, v129
	;;#ASMEND
	;; [unrolled: 3-line block ×4, first 2 shown]
	s_wait_loadcnt 0x3
	;;#ASMSTART
	v_cvt_off_f32_i4 v145, v133
	;;#ASMEND
	v_ashrrev_i32_e32 v129, 24, v130
	v_ashrrev_i32_e32 v131, 4, v130
	;; [unrolled: 1-line block ×5, first 2 shown]
	;;#ASMSTART
	v_cvt_off_f32_i4 v146, v129
	;;#ASMEND
	s_wait_loadcnt 0x2
	;;#ASMSTART
	v_cvt_off_f32_i4 v147, v131
	;;#ASMEND
	;;#ASMSTART
	v_cvt_off_f32_i4 v148, v132
	;;#ASMEND
	s_wait_loadcnt 0x1
	;;#ASMSTART
	v_cvt_off_f32_i4 v149, v133
	;;#ASMEND
	;;#ASMSTART
	v_cvt_off_f32_i4 v150, v130
	;;#ASMEND
	ds_load_b64 v[129:130], v185 offset:16384
	s_wait_loadcnt_dscnt 0x0
	;;#ASMSTART
	v_cvt_off_f32_i4 v151, v129
	;;#ASMEND
	s_lshl_b64 s[0:1], s[24:25], 1
	s_mov_b32 s3, 0
	s_mov_b32 s2, s17
	s_add_nc_u64 s[8:9], s[20:21], s[0:1]
	s_mul_u64 s[0:1], s[22:23], s[2:3]
	v_ashrrev_i32_e32 v131, 16, v129
	v_ashrrev_i32_e32 v132, 8, v129
	;; [unrolled: 1-line block ×3, first 2 shown]
	;;#ASMSTART
	v_cvt_off_f32_i4 v152, v131
	;;#ASMEND
	v_ashrrev_i32_e32 v131, 20, v129
	v_ashrrev_i32_e32 v134, 4, v129
	;;#ASMSTART
	v_cvt_off_f32_i4 v153, v132
	;;#ASMEND
	;;#ASMSTART
	v_cvt_off_f32_i4 v154, v133
	;;#ASMEND
	;; [unrolled: 3-line block ×3, first 2 shown]
	v_ashrrev_i32_e32 v132, 12, v129
	v_ashrrev_i32_e32 v129, 28, v129
	;;#ASMSTART
	v_cvt_off_f32_i4 v156, v131
	;;#ASMEND
	v_ashrrev_i32_e32 v131, 16, v130
	v_ashrrev_i32_e32 v133, 8, v130
	;;#ASMSTART
	v_cvt_off_f32_i4 v157, v132
	;;#ASMEND
	;;#ASMSTART
	v_cvt_off_f32_i4 v158, v129
	;;#ASMEND
	;;#ASMSTART
	v_cvt_off_f32_i4 v159, v130
	;;#ASMEND
	;;#ASMSTART
	v_cvt_off_f32_i4 v160, v131
	;;#ASMEND
	;;#ASMSTART
	v_cvt_off_f32_i4 v161, v133
	;;#ASMEND
	v_ashrrev_i32_e32 v129, 24, v130
	v_ashrrev_i32_e32 v131, 4, v130
	;; [unrolled: 1-line block ×5, first 2 shown]
	;;#ASMSTART
	v_cvt_off_f32_i4 v162, v129
	;;#ASMEND
	;;#ASMSTART
	v_cvt_off_f32_i4 v163, v131
	;;#ASMEND
	;; [unrolled: 3-line block ×5, first 2 shown]
	ds_load_b64 v[129:130], v182 offset:16384
	s_wait_dscnt 0x0
	;;#ASMSTART
	v_cvt_off_f32_i4 v167, v129
	;;#ASMEND
	v_ashrrev_i32_e32 v131, 16, v129
	v_ashrrev_i32_e32 v132, 8, v129
	;;#ASMSTART
	v_cvt_off_f32_i4 v168, v131
	;;#ASMEND
	v_ashrrev_i32_e32 v131, 20, v129
	v_ashrrev_i32_e32 v133, 24, v129
	;; [unrolled: 1-line block ×3, first 2 shown]
	;;#ASMSTART
	v_cvt_off_f32_i4 v173, v132
	;;#ASMEND
	;;#ASMSTART
	v_cvt_off_f32_i4 v174, v133
	;;#ASMEND
	;; [unrolled: 3-line block ×3, first 2 shown]
	v_ashrrev_i32_e32 v132, 12, v129
	v_ashrrev_i32_e32 v129, 28, v129
	;;#ASMSTART
	v_cvt_off_f32_i4 v179, v131
	;;#ASMEND
	v_ashrrev_i32_e32 v131, 16, v130
	v_ashrrev_i32_e32 v133, 8, v130
	;;#ASMSTART
	v_cvt_off_f32_i4 v180, v132
	;;#ASMEND
	;;#ASMSTART
	v_cvt_off_f32_i4 v129, v129
	;;#ASMEND
	;; [unrolled: 3-line block ×4, first 2 shown]
	v_ashrrev_i32_e32 v131, 24, v130
	v_ashrrev_i32_e32 v132, 4, v130
	;;#ASMSTART
	v_cvt_off_f32_i4 v184, v133
	;;#ASMEND
	v_ashrrev_i32_e32 v133, 20, v130
	v_ashrrev_i32_e32 v134, 12, v130
	;; [unrolled: 1-line block ×3, first 2 shown]
	;;#ASMSTART
	v_cvt_off_f32_i4 v185, v131
	;;#ASMEND
	;;#ASMSTART
	v_cvt_off_f32_i4 v186, v132
	;;#ASMEND
	;; [unrolled: 3-line block ×5, first 2 shown]
	ds_load_b64 v[131:132], v181 offset:16384
	v_dual_mov_b32 v133, 0 :: v_dual_mov_b32 v134, 0
	s_wait_dscnt 0x0
	;;#ASMSTART
	v_cvt_off_f32_i4 v181, v131
	;;#ASMEND
	v_mov_b32_e32 v130, 0
	s_delay_alu instid0(VALU_DEP_2) | instskip(SKIP_2) | instid1(VALU_DEP_3)
	v_cvt_pk_fp8_f32 v133, v135, v136
	v_cvt_pk_fp8_f32 v134, v137, v138
	v_dual_mov_b32 v136, 0 :: v_dual_mov_b32 v135, 0
	v_cvt_pk_fp8_f32 v133, v139, v140 op_sel:[0,0,1]
	s_delay_alu instid0(VALU_DEP_3) | instskip(SKIP_1) | instid1(VALU_DEP_4)
	v_cvt_pk_fp8_f32 v134, v141, v142 op_sel:[0,0,1]
	v_mov_b32_e32 v141, 0
	v_cvt_pk_fp8_f32 v135, v143, v144
	v_mov_b32_e32 v142, 0
	s_delay_alu instid0(VALU_DEP_3) | instskip(NEXT) | instid1(VALU_DEP_3)
	v_cvt_pk_fp8_f32 v141, v167, v168
	v_cvt_pk_fp8_f32 v135, v147, v148 op_sel:[0,0,1]
	v_ashrrev_i32_e32 v137, 16, v131
	v_ashrrev_i32_e32 v138, 8, v131
	;; [unrolled: 1-line block ×3, first 2 shown]
	;;#ASMSTART
	v_cvt_off_f32_i4 v190, v137
	;;#ASMEND
	v_ashrrev_i32_e32 v137, 20, v131
	v_ashrrev_i32_e32 v140, 4, v131
	;;#ASMSTART
	v_cvt_off_f32_i4 v191, v138
	;;#ASMEND
	;;#ASMSTART
	v_cvt_off_f32_i4 v192, v139
	;;#ASMEND
	;; [unrolled: 3-line block ×3, first 2 shown]
	v_ashrrev_i32_e32 v138, 12, v131
	v_ashrrev_i32_e32 v131, 28, v131
	;;#ASMSTART
	v_cvt_off_f32_i4 v194, v137
	;;#ASMEND
	v_ashrrev_i32_e32 v137, 16, v132
	v_ashrrev_i32_e32 v139, 8, v132
	;;#ASMSTART
	v_cvt_off_f32_i4 v195, v138
	;;#ASMEND
	;;#ASMSTART
	v_cvt_off_f32_i4 v196, v131
	;;#ASMEND
	;; [unrolled: 3-line block ×5, first 2 shown]
	v_ashrrev_i32_e32 v131, 24, v132
	v_ashrrev_i32_e32 v137, 4, v132
	;; [unrolled: 1-line block ×5, first 2 shown]
	;;#ASMSTART
	v_cvt_off_f32_i4 v200, v131
	;;#ASMEND
	;;#ASMSTART
	v_cvt_off_f32_i4 v201, v137
	;;#ASMEND
	;; [unrolled: 3-line block ×5, first 2 shown]
	ds_load_b64 v[131:132], v178 offset:16384
	v_dual_mov_b32 v137, 0 :: v_dual_mov_b32 v138, 0
	v_dual_mov_b32 v139, 0 :: v_dual_mov_b32 v140, 0
	v_cvt_pk_fp8_f32 v136, v145, v146
	s_delay_alu instid0(VALU_DEP_3) | instskip(NEXT) | instid1(VALU_DEP_4)
	v_cvt_pk_fp8_f32 v137, v151, v152
	v_cvt_pk_fp8_f32 v138, v153, v154
	s_delay_alu instid0(VALU_DEP_4)
	v_cvt_pk_fp8_f32 v139, v159, v160
	v_cvt_pk_fp8_f32 v140, v161, v162
	s_wait_dscnt 0x0
	;;#ASMSTART
	v_cvt_off_f32_i4 v151, v131
	;;#ASMEND
	v_cvt_pk_fp8_f32 v137, v155, v156 op_sel:[0,0,1]
	v_cvt_pk_fp8_f32 v138, v157, v158 op_sel:[0,0,1]
	;; [unrolled: 1-line block ×6, first 2 shown]
	v_dual_mov_b32 v148, 0 :: v_dual_mov_b32 v149, 0
	v_mov_b32_e32 v147, 0
	v_ashrrev_i32_e32 v143, 16, v131
	v_ashrrev_i32_e32 v144, 8, v131
	;; [unrolled: 1-line block ×3, first 2 shown]
	;;#ASMSTART
	v_cvt_off_f32_i4 v152, v143
	;;#ASMEND
	v_ashrrev_i32_e32 v143, 20, v131
	v_ashrrev_i32_e32 v146, 4, v131
	;;#ASMSTART
	v_cvt_off_f32_i4 v153, v144
	;;#ASMEND
	;;#ASMSTART
	v_cvt_off_f32_i4 v154, v145
	;;#ASMEND
	;; [unrolled: 3-line block ×3, first 2 shown]
	v_ashrrev_i32_e32 v144, 12, v131
	v_ashrrev_i32_e32 v131, 28, v131
	;;#ASMSTART
	v_cvt_off_f32_i4 v156, v143
	;;#ASMEND
	v_ashrrev_i32_e32 v143, 16, v132
	v_ashrrev_i32_e32 v145, 8, v132
	;;#ASMSTART
	v_cvt_off_f32_i4 v157, v144
	;;#ASMEND
	;;#ASMSTART
	v_cvt_off_f32_i4 v158, v131
	;;#ASMEND
	;; [unrolled: 3-line block ×5, first 2 shown]
	v_ashrrev_i32_e32 v131, 24, v132
	v_ashrrev_i32_e32 v143, 4, v132
	;; [unrolled: 1-line block ×5, first 2 shown]
	;;#ASMSTART
	v_cvt_off_f32_i4 v162, v131
	;;#ASMEND
	;;#ASMSTART
	v_cvt_off_f32_i4 v163, v143
	;;#ASMEND
	;; [unrolled: 3-line block ×5, first 2 shown]
	ds_load_b64 v[131:132], v177 offset:16384
	v_mov_b32_e32 v143, 0
	v_cvt_pk_fp8_f32 v142, v173, v174
	v_dual_mov_b32 v144, 0 :: v_dual_mov_b32 v145, 0
	s_wait_dscnt 0x0
	;;#ASMSTART
	v_cvt_off_f32_i4 v167, v131
	;;#ASMEND
	v_cvt_pk_fp8_f32 v143, v182, v183
	v_cvt_pk_fp8_f32 v142, v180, v129 op_sel:[0,0,1]
	v_cvt_pk_fp8_f32 v144, v184, v185
	v_cvt_pk_fp8_f32 v145, v181, v190
	v_cvt_pk_fp8_f32 v149, v151, v152
	v_cvt_pk_fp8_f32 v143, v186, v187 op_sel:[0,0,1]
	v_dual_mov_b32 v151, 0 :: v_dual_mov_b32 v152, 0
	v_mov_b32_e32 v146, 0
	v_cvt_pk_fp8_f32 v144, v188, v189 op_sel:[0,0,1]
	v_cvt_pk_fp8_f32 v149, v155, v156 op_sel:[0,0,1]
	s_delay_alu instid0(VALU_DEP_4)
	v_cvt_pk_fp8_f32 v151, v159, v160
	v_mov_b32_e32 v155, 0
	v_cvt_pk_fp8_f32 v146, v191, v192
	v_ashrrev_i32_e32 v129, 16, v131
	v_ashrrev_i32_e32 v150, 8, v131
	;; [unrolled: 1-line block ×4, first 2 shown]
	;;#ASMSTART
	v_cvt_off_f32_i4 v129, v129
	;;#ASMEND
	;;#ASMSTART
	v_cvt_off_f32_i4 v174, v150
	;;#ASMEND
	v_ashrrev_i32_e32 v150, 20, v131
	;;#ASMSTART
	v_cvt_off_f32_i4 v168, v168
	;;#ASMEND
	;;#ASMSTART
	v_cvt_off_f32_i4 v173, v173
	;;#ASMEND
	v_ashrrev_i32_e32 v175, 12, v131
	v_ashrrev_i32_e32 v131, 28, v131
	;;#ASMSTART
	v_cvt_off_f32_i4 v177, v150
	;;#ASMEND
	v_ashrrev_i32_e32 v150, 16, v132
	v_ashrrev_i32_e32 v178, 8, v132
	;;#ASMSTART
	v_cvt_off_f32_i4 v175, v175
	;;#ASMEND
	;;#ASMSTART
	v_cvt_off_f32_i4 v179, v131
	;;#ASMEND
	;; [unrolled: 3-line block ×4, first 2 shown]
	v_ashrrev_i32_e32 v131, 24, v132
	v_ashrrev_i32_e32 v150, 4, v132
	;; [unrolled: 1-line block ×5, first 2 shown]
	;;#ASMSTART
	v_cvt_off_f32_i4 v178, v178
	;;#ASMEND
	;;#ASMSTART
	v_cvt_off_f32_i4 v184, v131
	;;#ASMEND
	;;#ASMSTART
	v_cvt_off_f32_i4 v185, v150
	;;#ASMEND
	;;#ASMSTART
	v_cvt_off_f32_i4 v182, v182
	;;#ASMEND
	;;#ASMSTART
	v_cvt_off_f32_i4 v183, v183
	;;#ASMEND
	;;#ASMSTART
	v_cvt_off_f32_i4 v186, v132
	;;#ASMEND
	ds_load_b64 v[131:132], v176 offset:16384
	v_mov_b32_e32 v150, 0
	v_cvt_pk_fp8_f32 v151, v163, v164 op_sel:[0,0,1]
	v_cvt_pk_fp8_f32 v145, v193, v194 op_sel:[0,0,1]
	v_mov_b32_e32 v156, 0
	v_mov_b32_e32 v160, 0
	v_cvt_pk_fp8_f32 v150, v153, v154
	v_dual_mov_b32 v153, 0 :: v_dual_mov_b32 v154, 0
	v_cvt_pk_fp8_f32 v152, v161, v162
	s_wait_dscnt 0x0
	;;#ASMSTART
	v_cvt_off_f32_i4 v161, v131
	;;#ASMEND
	v_cvt_pk_fp8_f32 v150, v157, v158 op_sel:[0,0,1]
	v_cvt_pk_fp8_f32 v153, v167, v129
	v_cvt_pk_fp8_f32 v154, v174, v168
	v_cvt_pk_fp8_f32 v152, v165, v166 op_sel:[0,0,1]
	v_cvt_pk_fp8_f32 v147, v197, v198
	v_cvt_pk_fp8_f32 v148, v199, v200
	;; [unrolled: 1-line block ×3, first 2 shown]
	v_cvt_pk_fp8_f32 v146, v195, v196 op_sel:[0,0,1]
	v_cvt_pk_fp8_f32 v153, v173, v177 op_sel:[0,0,1]
	v_ashrrev_i32_e32 v129, 16, v131
	v_ashrrev_i32_e32 v157, 8, v131
	;; [unrolled: 1-line block ×4, first 2 shown]
	;;#ASMSTART
	v_cvt_off_f32_i4 v129, v129
	;;#ASMEND
	;;#ASMSTART
	v_cvt_off_f32_i4 v162, v157
	;;#ASMEND
	v_ashrrev_i32_e32 v157, 20, v131
	;;#ASMSTART
	v_cvt_off_f32_i4 v163, v158
	;;#ASMEND
	;;#ASMSTART
	v_cvt_off_f32_i4 v164, v159
	;;#ASMEND
	v_ashrrev_i32_e32 v158, 12, v131
	v_ashrrev_i32_e32 v131, 28, v131
	;;#ASMSTART
	v_cvt_off_f32_i4 v167, v157
	;;#ASMEND
	v_ashrrev_i32_e32 v157, 16, v132
	v_ashrrev_i32_e32 v159, 8, v132
	;;#ASMSTART
	v_cvt_off_f32_i4 v168, v158
	;;#ASMEND
	;;#ASMSTART
	v_cvt_off_f32_i4 v174, v131
	;;#ASMEND
	;; [unrolled: 3-line block ×5, first 2 shown]
	v_ashrrev_i32_e32 v131, 24, v132
	v_ashrrev_i32_e32 v157, 4, v132
	v_ashrrev_i32_e32 v158, 20, v132
	v_ashrrev_i32_e32 v159, 12, v132
	v_ashrrev_i32_e32 v132, 28, v132
	;;#ASMSTART
	v_cvt_off_f32_i4 v189, v131
	;;#ASMEND
	;;#ASMSTART
	v_cvt_off_f32_i4 v190, v157
	;;#ASMEND
	;; [unrolled: 3-line block ×5, first 2 shown]
	ds_load_b64 v[131:132], v172 offset:16384
	v_dual_mov_b32 v157, 0 :: v_dual_mov_b32 v158, 0
	v_mov_b32_e32 v159, 0
	v_cvt_pk_fp8_f32 v156, v178, v184
	v_cvt_pk_fp8_f32 v147, v201, v202 op_sel:[0,0,1]
	s_delay_alu instid0(VALU_DEP_4)
	v_cvt_pk_fp8_f32 v157, v161, v129
	v_mov_b32_e32 v161, 0
	v_cvt_pk_fp8_f32 v158, v162, v163
	s_wait_dscnt 0x0
	;;#ASMSTART
	v_cvt_off_f32_i4 v162, v131
	;;#ASMEND
	v_cvt_pk_fp8_f32 v159, v176, v187
	v_cvt_pk_fp8_f32 v157, v164, v167 op_sel:[0,0,1]
	v_cvt_pk_fp8_f32 v160, v188, v189
	v_cvt_pk_fp8_f32 v148, v203, v204 op_sel:[0,0,1]
	v_cvt_pk_fp8_f32 v154, v175, v179 op_sel:[0,0,1]
	;; [unrolled: 1-line block ×7, first 2 shown]
	v_ashrrev_i32_e32 v129, 16, v131
	;;#ASMSTART
	v_cvt_off_f32_i4 v129, v129
	;;#ASMEND
	s_delay_alu instid0(VALU_DEP_1)
	v_cvt_pk_fp8_f32 v161, v162, v129
	v_mov_b32_e32 v162, 0
	v_ashrrev_i32_e32 v163, 8, v131
	v_ashrrev_i32_e32 v164, 24, v131
	;;#ASMSTART
	v_cvt_off_f32_i4 v129, v163
	;;#ASMEND
	;;#ASMSTART
	v_cvt_off_f32_i4 v163, v164
	;;#ASMEND
	s_delay_alu instid0(VALU_DEP_2)
	v_cvt_pk_fp8_f32 v162, v129, v163
	v_ashrrev_i32_e32 v164, 4, v131
	v_ashrrev_i32_e32 v129, 12, v131
	;; [unrolled: 1-line block ×4, first 2 shown]
	;;#ASMSTART
	v_cvt_off_f32_i4 v163, v164
	;;#ASMEND
	;;#ASMSTART
	v_cvt_off_f32_i4 v164, v165
	;;#ASMEND
	;; [unrolled: 3-line block ×4, first 2 shown]
	v_cvt_pk_fp8_f32 v162, v129, v131 op_sel:[0,0,1]
	v_mov_b32_e32 v129, 0
	v_ashrrev_i32_e32 v131, 16, v132
	v_cvt_pk_fp8_f32 v161, v163, v164 op_sel:[0,0,1]
	v_ashrrev_i32_e32 v163, 8, v132
	;;#ASMSTART
	v_cvt_off_f32_i4 v165, v132
	;;#ASMEND
	;;#ASMSTART
	v_cvt_off_f32_i4 v131, v131
	;;#ASMEND
	v_ashrrev_i32_e32 v164, 24, v132
	v_cvt_pk_fp8_f32 v129, v165, v131
	;;#ASMSTART
	v_cvt_off_f32_i4 v131, v163
	;;#ASMEND
	;;#ASMSTART
	v_cvt_off_f32_i4 v163, v164
	;;#ASMEND
	v_cvt_pk_fp8_f32 v130, v131, v163
	v_ashrrev_i32_e32 v164, 4, v132
	v_ashrrev_i32_e32 v165, 20, v132
	v_ashrrev_i32_e32 v131, 12, v132
	v_ashrrev_i32_e32 v132, 28, v132
	;;#ASMSTART
	v_cvt_off_f32_i4 v163, v164
	;;#ASMEND
	;;#ASMSTART
	v_cvt_off_f32_i4 v164, v165
	;;#ASMEND
	v_cvt_pk_fp8_f32 v129, v163, v164 op_sel:[0,0,1]
	;;#ASMSTART
	v_cvt_off_f32_i4 v131, v131
	;;#ASMEND
	;;#ASMSTART
	v_cvt_off_f32_i4 v132, v132
	;;#ASMEND
	v_cvt_pk_fp8_f32 v130, v131, v132 op_sel:[0,0,1]
	; sched_barrier mask(0x00000000)
	s_barrier_signal -1
	s_barrier_wait -1
	; sched_barrier mask(0x00000000)
	v_wmma_f32_16x16x16_fp8_fp8 v[57:64], v[133:134], v[121:122], v[57:64]
	s_delay_alu instid0(VALU_DEP_1)
	v_wmma_f32_16x16x16_fp8_fp8 v[57:64], v[135:136], v[123:124], v[57:64]
	; sched_barrier mask(0x00000000)
	s_setprio 1
	; sched_barrier mask(0x00000000)
	v_wmma_f32_16x16x16_fp8_fp8 v[49:56], v[149:150], v[121:122], v[49:56]
	v_wmma_f32_16x16x16_fp8_fp8 v[33:40], v[133:134], v[117:118], v[33:40]
	;; [unrolled: 1-line block ×60, first 2 shown]
	; sched_barrier mask(0x00000000)
	s_wait_dscnt 0x0
	s_barrier_signal -1
	s_barrier_wait -1
	; sched_barrier mask(0x00000000)
	v_wmma_f32_16x16x16_fp8_fp8 v[1:8], v[161:162], v[65:66], v[1:8]
	s_delay_alu instid0(VALU_DEP_1)
	v_wmma_f32_16x16x16_fp8_fp8 v[1:8], v[129:130], v[67:68], v[1:8]
	; sched_barrier mask(0x00000000)
	s_setprio 0
	; sched_barrier mask(0x00000000)
	v_lshlrev_b32_e32 v0, 3, v0
	v_and_b32_e32 v65, 56, v169
	v_lshl_or_b32 v66, s19, 7, v170
	v_cvt_f16_f32_e32 v69, v60
	v_cvt_f16_f32_e32 v63, v63
	v_and_b32_e32 v68, 56, v0
	v_lshlrev_b32_e32 v60, 1, v65
	v_cvt_f16_f32_e32 v64, v64
	v_cvt_f16_f32_e32 v67, v59
	;; [unrolled: 1-line block ×3, first 2 shown]
	v_or_b32_e32 v0, s6, v68
	v_cvt_f16_f32_e32 v65, v62
	v_cvt_f16_f32_e32 v57, v57
	v_lshl_or_b32 v70, v171, 7, v60
	v_pack_b32_f16 v60, v63, v64
	v_mad_co_u64_u32 v[61:62], null, v66, s17, v[0:1]
	v_cvt_f16_f32_e32 v62, v58
	v_lshlrev_b32_e32 v63, 1, v68
	v_pack_b32_f16 v59, v59, v65
	v_pack_b32_f16 v58, v67, v69
	s_wait_dscnt 0x0
	v_pack_b32_f16 v57, v57, v62
	v_lshl_or_b32 v62, v170, 7, v63
	s_barrier_signal -1
	s_barrier_wait -1
	v_cmp_gt_i32_e32 vcc_lo, s5, v0
	ds_store_b128 v70, v[57:60]
	s_wait_dscnt 0x0
	s_barrier_signal -1
	s_barrier_wait -1
	ds_load_b128 v[57:60], v62
	v_cmp_gt_i32_e64 s3, s4, v66
	v_or_b32_e32 v63, 4, v0
	v_lshlrev_b32_e32 v64, 1, v61
	s_add_co_i32 s1, s5, s1
	s_and_b32 s9, s9, 0xffff
	s_and_b32 s0, s3, vcc_lo
	s_lshl_b32 s10, s1, 1
	v_cndmask_b32_e64 v65, 0x80000000, 0, s0
	v_cmp_gt_i32_e64 s0, s5, v63
	s_mov_b32 s11, 0x31004000
	v_cvt_f16_f32_e32 v49, v49
	v_cvt_f16_f32_e32 v54, v54
	v_add_nc_u32_e32 v63, v65, v64
	s_and_b32 s1, s3, s0
	v_cvt_f16_f32_e32 v41, v41
	s_wait_alu 0xfffe
	v_cndmask_b32_e64 v65, 0x80000000, 0, s1
	v_cvt_f16_f32_e32 v46, v46
	v_cvt_f16_f32_e32 v33, v33
	;; [unrolled: 1-line block ×3, first 2 shown]
	s_wait_dscnt 0x0
	buffer_store_b64 v[57:58], v63, s[8:11], null offen
	v_cvt_f16_f32_e32 v58, v51
	v_cvt_f16_f32_e32 v51, v53
	;; [unrolled: 1-line block ×6, first 2 shown]
	v_add_nc_u32_e32 v57, v64, v65
	v_pack_b32_f16 v51, v51, v54
	v_pack_b32_f16 v52, v53, v55
	;; [unrolled: 1-line block ×4, first 2 shown]
	v_or_b32_e32 v53, 64, v0
	buffer_store_b64 v[59:60], v57, s[8:11], null offen offset:8
	s_wait_dscnt 0x0
	s_barrier_signal -1
	s_barrier_wait -1
	ds_store_b128 v70, v[49:52]
	s_wait_dscnt 0x0
	s_barrier_signal -1
	s_barrier_wait -1
	ds_load_b128 v[49:52], v62
	v_cmp_gt_i32_e64 s1, s5, v53
	v_or_b32_e32 v0, 0x44, v0
	v_add_nc_u32_e32 v53, 64, v61
	v_cvt_f16_f32_e32 v25, v25
	v_cvt_f16_f32_e32 v30, v30
	s_and_b32 s2, s3, s1
	v_cvt_f16_f32_e32 v17, v17
	v_cndmask_b32_e64 v54, 0x80000000, 0, s2
	v_cmp_gt_i32_e64 s2, s5, v0
	s_lshl_b32 s5, s17, 5
	v_cvt_f16_f32_e32 v22, v22
	v_cvt_f16_f32_e32 v5, v5
	v_lshl_add_u32 v0, v53, 1, v54
	s_and_b32 s3, s3, s2
	v_cvt_f16_f32_e32 v6, v6
	s_wait_alu 0xfffe
	v_cndmask_b32_e64 v54, 0x80000000, 0, s3
	v_cvt_f16_f32_e32 v4, v4
	v_cvt_f16_f32_e32 v10, v10
	s_wait_dscnt 0x0
	buffer_store_b64 v[49:50], v0, s[8:11], null offen
	v_cvt_f16_f32_e32 v49, v43
	v_cvt_f16_f32_e32 v43, v45
	;; [unrolled: 1-line block ×6, first 2 shown]
	v_add_nc_u32_e32 v0, v64, v54
	v_pack_b32_f16 v43, v43, v46
	v_pack_b32_f16 v44, v45, v47
	v_pack_b32_f16 v42, v49, v48
	v_pack_b32_f16 v41, v41, v50
	buffer_store_b64 v[51:52], v0, s[8:11], null offen offset:136
	v_or_b32_e32 v0, 32, v66
	s_wait_dscnt 0x0
	s_barrier_signal -1
	s_barrier_wait -1
	ds_store_b128 v70, v[41:44]
	s_wait_dscnt 0x0
	s_barrier_signal -1
	s_barrier_wait -1
	ds_load_b128 v[41:44], v62
	v_cmp_gt_i32_e64 s3, s4, v0
	v_add_lshl_u32 v0, v53, s5, 1
	s_and_b32 s6, s3, s1
	s_wait_alu 0xfffe
	v_cndmask_b32_e64 v45, 0x80000000, 0, s6
	s_and_b32 s6, s3, s2
	s_delay_alu instid0(VALU_DEP_1)
	v_add_nc_u32_e32 v45, v0, v45
	s_wait_dscnt 0x0
	buffer_store_b64 v[41:42], v45, s[8:11], null offen
	v_cndmask_b32_e64 v41, 0x80000008, 8, s6
	v_cvt_f16_f32_e32 v42, v35
	v_cvt_f16_f32_e32 v35, v37
	;; [unrolled: 1-line block ×6, first 2 shown]
	v_add_nc_u32_e32 v0, v0, v41
	v_pack_b32_f16 v35, v35, v38
	v_pack_b32_f16 v36, v37, v39
	;; [unrolled: 1-line block ×4, first 2 shown]
	buffer_store_b64 v[43:44], v0, s[8:11], null offen
	s_wait_dscnt 0x0
	s_barrier_signal -1
	s_barrier_wait -1
	ds_store_b128 v70, v[33:36]
	s_wait_dscnt 0x0
	s_barrier_signal -1
	s_barrier_wait -1
	ds_load_b128 v[33:36], v62
	v_add_nc_u32_e32 v0, s5, v61
	s_and_b32 s6, vcc_lo, s3
	s_and_b32 s3, s3, s0
	s_wait_alu 0xfffe
	v_cndmask_b32_e64 v38, 0x80000000, 0, s6
	v_cndmask_b32_e64 v39, 0x80000000, 0, s3
	v_lshlrev_b32_e32 v37, 1, v0
	s_delay_alu instid0(VALU_DEP_1)
	v_add_nc_u32_e32 v38, v38, v37
	s_wait_dscnt 0x0
	buffer_store_b64 v[33:34], v38, s[8:11], null offen
	v_add_nc_u32_e32 v33, v37, v39
	v_cvt_f16_f32_e32 v34, v27
	v_cvt_f16_f32_e32 v27, v29
	;; [unrolled: 1-line block ×6, first 2 shown]
	v_pack_b32_f16 v27, v27, v30
	buffer_store_b64 v[35:36], v33, s[8:11], null offen offset:8
	v_pack_b32_f16 v28, v29, v31
	v_pack_b32_f16 v26, v34, v32
	;; [unrolled: 1-line block ×3, first 2 shown]
	v_or_b32_e32 v29, 64, v66
	s_wait_dscnt 0x0
	s_barrier_signal -1
	s_barrier_wait -1
	ds_store_b128 v70, v[25:28]
	s_wait_dscnt 0x0
	s_barrier_signal -1
	s_barrier_wait -1
	ds_load_b128 v[25:28], v62
	v_cmp_gt_i32_e64 s3, s4, v29
	v_add_nc_u32_e32 v30, s5, v0
	s_and_b32 s6, vcc_lo, s3
	s_delay_alu instid0(VALU_DEP_1) | instskip(SKIP_3) | instid1(VALU_DEP_1)
	v_lshlrev_b32_e32 v0, 1, v30
	s_wait_alu 0xfffe
	v_cndmask_b32_e64 v29, 0x80000000, 0, s6
	s_and_b32 s6, s3, s0
	v_add_nc_u32_e32 v29, v0, v29
	s_wait_dscnt 0x0
	buffer_store_b64 v[25:26], v29, s[8:11], null offen
	v_cndmask_b32_e64 v25, 0x80000008, 8, s6
	v_cvt_f16_f32_e32 v26, v19
	v_cvt_f16_f32_e32 v19, v21
	;; [unrolled: 1-line block ×6, first 2 shown]
	v_add_nc_u32_e32 v25, v0, v25
	v_pack_b32_f16 v19, v19, v22
	v_pack_b32_f16 v20, v21, v23
	;; [unrolled: 1-line block ×4, first 2 shown]
	buffer_store_b64 v[27:28], v25, s[8:11], null offen
	s_wait_dscnt 0x0
	s_barrier_signal -1
	s_barrier_wait -1
	ds_store_b128 v70, v[17:20]
	s_wait_dscnt 0x0
	s_barrier_signal -1
	s_barrier_wait -1
	ds_load_b128 v[17:20], v62
	s_and_b32 s6, s3, s1
	v_add_nc_u32_e32 v21, 64, v30
	s_wait_alu 0xfffe
	v_cndmask_b32_e64 v22, 0x80000000, 0, s6
	v_mov_b32_e32 v23, 0x88
	s_and_b32 s3, s3, s2
	s_delay_alu instid0(VALU_DEP_2) | instskip(SKIP_1) | instid1(VALU_DEP_2)
	v_lshl_add_u32 v22, v21, 1, v22
	s_wait_alu 0xfffe
	v_cndmask_b32_e64 v23, 0x80000088, v23, s3
	s_delay_alu instid0(VALU_DEP_1)
	v_add_nc_u32_e32 v0, v0, v23
	s_wait_dscnt 0x0
	buffer_store_b64 v[17:18], v22, s[8:11], null offen
	v_cvt_f16_f32_e32 v17, v1
	v_cvt_f16_f32_e32 v1, v3
	;; [unrolled: 1-line block ×5, first 2 shown]
	buffer_store_b64 v[19:20], v0, s[8:11], null offen
	v_pack_b32_f16 v2, v5, v6
	v_pack_b32_f16 v1, v1, v4
	;; [unrolled: 1-line block ×4, first 2 shown]
	v_or_b32_e32 v4, 0x60, v66
	s_wait_dscnt 0x0
	s_barrier_signal -1
	s_barrier_wait -1
	ds_store_b128 v70, v[0:3]
	s_wait_dscnt 0x0
	s_barrier_signal -1
	s_barrier_wait -1
	ds_load_b128 v[0:3], v62
	v_cmp_gt_i32_e64 s3, s4, v4
	v_add_lshl_u32 v4, v21, s5, 1
	v_cvt_f16_f32_e32 v6, v13
	v_cvt_f16_f32_e32 v7, v15
	;; [unrolled: 1-line block ×3, first 2 shown]
	s_and_b32 s1, s3, s1
	s_and_b32 s0, s3, s0
	s_wait_alu 0xfffe
	v_cndmask_b32_e64 v5, 0x80000000, 0, s1
	s_and_b32 s1, s3, s2
	v_pack_b32_f16 v7, v7, v8
	s_delay_alu instid0(VALU_DEP_2)
	v_add_nc_u32_e32 v5, v4, v5
	s_wait_dscnt 0x0
	buffer_store_b64 v[0:1], v5, s[8:11], null offen
	v_cndmask_b32_e64 v0, 0x80000008, 8, s1
	v_cvt_f16_f32_e32 v1, v9
	v_cvt_f16_f32_e32 v5, v11
	;; [unrolled: 1-line block ×4, first 2 shown]
	v_add_nc_u32_e32 v0, v4, v0
	v_pack_b32_f16 v4, v1, v10
	s_and_b32 s1, vcc_lo, s3
	v_pack_b32_f16 v6, v6, v9
	v_pack_b32_f16 v5, v5, v11
	buffer_store_b64 v[2:3], v0, s[8:11], null offen
	s_wait_dscnt 0x0
	s_barrier_signal -1
	s_barrier_wait -1
	ds_store_b128 v70, v[4:7]
	s_wait_dscnt 0x0
	s_barrier_signal -1
	s_barrier_wait -1
	ds_load_b128 v[0:3], v62
	v_add_lshl_u32 v4, v30, s5, 1
	v_cndmask_b32_e64 v5, 0x80000000, 0, s1
	v_cndmask_b32_e64 v6, 0x80000008, 8, s0
	s_delay_alu instid0(VALU_DEP_2) | instskip(NEXT) | instid1(VALU_DEP_2)
	v_add_nc_u32_e32 v5, v4, v5
	v_add_nc_u32_e32 v4, v4, v6
	s_wait_dscnt 0x0
	s_clause 0x1
	buffer_store_b64 v[0:1], v5, s[8:11], null offen
	buffer_store_b64 v[2:3], v4, s[8:11], null offen
	s_nop 0
	s_sendmsg sendmsg(MSG_DEALLOC_VGPRS)
	s_endpgm
	.section	.rodata,"a",@progbits
	.p2align	6, 0x0
	.amdhsa_kernel _ZN2ck27kernel_gemm_xdl_cshuffle_v3INS_28GridwiseGemm_xdl_cshuffle_v3INS_13tensor_layout4gemm8RowMajorENS3_11ColumnMajorES4_NS_9f8_fnuz_tENS_7pk_i4_tEfDF16_DF16_NS_16tensor_operation12element_wise11PassThroughESA_SA_LNS8_6device18GemmSpecializationE0ELi256ELi128ELi128ELi128ELi16ELi16ELi16ELi16ELi4ELi2ENS_8SequenceIJLi8ELi32ELi1EEEENSD_IJLi1ELi0ELi2EEEESF_Li2ELi16ELi16ELb0ELi0ENSD_IJLi4ELi64ELi1EEEESF_SF_Li2ELi16ELi16ELb0ELi0ELi1ELi1ENSD_IJLi1ELi32ELi1ELi8EEEELi4ELNS_26BlockGemmPipelineSchedulerE1ELNS_24BlockGemmPipelineVersionE1ES6_S6_Lb0ELb1ELb0ELi0ELb0EEELb1ELNS_25InMemoryDataOperationEnumE0ELi2ELNS_10TailNumberE2EEEvNT_8ArgumentE
		.amdhsa_group_segment_fixed_size 24576
		.amdhsa_private_segment_fixed_size 0
		.amdhsa_kernarg_size 112
		.amdhsa_user_sgpr_count 2
		.amdhsa_user_sgpr_dispatch_ptr 0
		.amdhsa_user_sgpr_queue_ptr 0
		.amdhsa_user_sgpr_kernarg_segment_ptr 1
		.amdhsa_user_sgpr_dispatch_id 0
		.amdhsa_user_sgpr_private_segment_size 0
		.amdhsa_wavefront_size32 1
		.amdhsa_uses_dynamic_stack 0
		.amdhsa_enable_private_segment 0
		.amdhsa_system_sgpr_workgroup_id_x 1
		.amdhsa_system_sgpr_workgroup_id_y 0
		.amdhsa_system_sgpr_workgroup_id_z 1
		.amdhsa_system_sgpr_workgroup_info 0
		.amdhsa_system_vgpr_workitem_id 0
		.amdhsa_next_free_vgpr 232
		.amdhsa_next_free_sgpr 32
		.amdhsa_reserve_vcc 1
		.amdhsa_float_round_mode_32 0
		.amdhsa_float_round_mode_16_64 0
		.amdhsa_float_denorm_mode_32 3
		.amdhsa_float_denorm_mode_16_64 3
		.amdhsa_fp16_overflow 0
		.amdhsa_workgroup_processor_mode 1
		.amdhsa_memory_ordered 1
		.amdhsa_forward_progress 1
		.amdhsa_inst_pref_size 88
		.amdhsa_round_robin_scheduling 0
		.amdhsa_exception_fp_ieee_invalid_op 0
		.amdhsa_exception_fp_denorm_src 0
		.amdhsa_exception_fp_ieee_div_zero 0
		.amdhsa_exception_fp_ieee_overflow 0
		.amdhsa_exception_fp_ieee_underflow 0
		.amdhsa_exception_fp_ieee_inexact 0
		.amdhsa_exception_int_div_zero 0
	.end_amdhsa_kernel
	.section	.text._ZN2ck27kernel_gemm_xdl_cshuffle_v3INS_28GridwiseGemm_xdl_cshuffle_v3INS_13tensor_layout4gemm8RowMajorENS3_11ColumnMajorES4_NS_9f8_fnuz_tENS_7pk_i4_tEfDF16_DF16_NS_16tensor_operation12element_wise11PassThroughESA_SA_LNS8_6device18GemmSpecializationE0ELi256ELi128ELi128ELi128ELi16ELi16ELi16ELi16ELi4ELi2ENS_8SequenceIJLi8ELi32ELi1EEEENSD_IJLi1ELi0ELi2EEEESF_Li2ELi16ELi16ELb0ELi0ENSD_IJLi4ELi64ELi1EEEESF_SF_Li2ELi16ELi16ELb0ELi0ELi1ELi1ENSD_IJLi1ELi32ELi1ELi8EEEELi4ELNS_26BlockGemmPipelineSchedulerE1ELNS_24BlockGemmPipelineVersionE1ES6_S6_Lb0ELb1ELb0ELi0ELb0EEELb1ELNS_25InMemoryDataOperationEnumE0ELi2ELNS_10TailNumberE2EEEvNT_8ArgumentE,"axG",@progbits,_ZN2ck27kernel_gemm_xdl_cshuffle_v3INS_28GridwiseGemm_xdl_cshuffle_v3INS_13tensor_layout4gemm8RowMajorENS3_11ColumnMajorES4_NS_9f8_fnuz_tENS_7pk_i4_tEfDF16_DF16_NS_16tensor_operation12element_wise11PassThroughESA_SA_LNS8_6device18GemmSpecializationE0ELi256ELi128ELi128ELi128ELi16ELi16ELi16ELi16ELi4ELi2ENS_8SequenceIJLi8ELi32ELi1EEEENSD_IJLi1ELi0ELi2EEEESF_Li2ELi16ELi16ELb0ELi0ENSD_IJLi4ELi64ELi1EEEESF_SF_Li2ELi16ELi16ELb0ELi0ELi1ELi1ENSD_IJLi1ELi32ELi1ELi8EEEELi4ELNS_26BlockGemmPipelineSchedulerE1ELNS_24BlockGemmPipelineVersionE1ES6_S6_Lb0ELb1ELb0ELi0ELb0EEELb1ELNS_25InMemoryDataOperationEnumE0ELi2ELNS_10TailNumberE2EEEvNT_8ArgumentE,comdat
.Lfunc_end7:
	.size	_ZN2ck27kernel_gemm_xdl_cshuffle_v3INS_28GridwiseGemm_xdl_cshuffle_v3INS_13tensor_layout4gemm8RowMajorENS3_11ColumnMajorES4_NS_9f8_fnuz_tENS_7pk_i4_tEfDF16_DF16_NS_16tensor_operation12element_wise11PassThroughESA_SA_LNS8_6device18GemmSpecializationE0ELi256ELi128ELi128ELi128ELi16ELi16ELi16ELi16ELi4ELi2ENS_8SequenceIJLi8ELi32ELi1EEEENSD_IJLi1ELi0ELi2EEEESF_Li2ELi16ELi16ELb0ELi0ENSD_IJLi4ELi64ELi1EEEESF_SF_Li2ELi16ELi16ELb0ELi0ELi1ELi1ENSD_IJLi1ELi32ELi1ELi8EEEELi4ELNS_26BlockGemmPipelineSchedulerE1ELNS_24BlockGemmPipelineVersionE1ES6_S6_Lb0ELb1ELb0ELi0ELb0EEELb1ELNS_25InMemoryDataOperationEnumE0ELi2ELNS_10TailNumberE2EEEvNT_8ArgumentE, .Lfunc_end7-_ZN2ck27kernel_gemm_xdl_cshuffle_v3INS_28GridwiseGemm_xdl_cshuffle_v3INS_13tensor_layout4gemm8RowMajorENS3_11ColumnMajorES4_NS_9f8_fnuz_tENS_7pk_i4_tEfDF16_DF16_NS_16tensor_operation12element_wise11PassThroughESA_SA_LNS8_6device18GemmSpecializationE0ELi256ELi128ELi128ELi128ELi16ELi16ELi16ELi16ELi4ELi2ENS_8SequenceIJLi8ELi32ELi1EEEENSD_IJLi1ELi0ELi2EEEESF_Li2ELi16ELi16ELb0ELi0ENSD_IJLi4ELi64ELi1EEEESF_SF_Li2ELi16ELi16ELb0ELi0ELi1ELi1ENSD_IJLi1ELi32ELi1ELi8EEEELi4ELNS_26BlockGemmPipelineSchedulerE1ELNS_24BlockGemmPipelineVersionE1ES6_S6_Lb0ELb1ELb0ELi0ELb0EEELb1ELNS_25InMemoryDataOperationEnumE0ELi2ELNS_10TailNumberE2EEEvNT_8ArgumentE
                                        ; -- End function
	.set _ZN2ck27kernel_gemm_xdl_cshuffle_v3INS_28GridwiseGemm_xdl_cshuffle_v3INS_13tensor_layout4gemm8RowMajorENS3_11ColumnMajorES4_NS_9f8_fnuz_tENS_7pk_i4_tEfDF16_DF16_NS_16tensor_operation12element_wise11PassThroughESA_SA_LNS8_6device18GemmSpecializationE0ELi256ELi128ELi128ELi128ELi16ELi16ELi16ELi16ELi4ELi2ENS_8SequenceIJLi8ELi32ELi1EEEENSD_IJLi1ELi0ELi2EEEESF_Li2ELi16ELi16ELb0ELi0ENSD_IJLi4ELi64ELi1EEEESF_SF_Li2ELi16ELi16ELb0ELi0ELi1ELi1ENSD_IJLi1ELi32ELi1ELi8EEEELi4ELNS_26BlockGemmPipelineSchedulerE1ELNS_24BlockGemmPipelineVersionE1ES6_S6_Lb0ELb1ELb0ELi0ELb0EEELb1ELNS_25InMemoryDataOperationEnumE0ELi2ELNS_10TailNumberE2EEEvNT_8ArgumentE.num_vgpr, 232
	.set _ZN2ck27kernel_gemm_xdl_cshuffle_v3INS_28GridwiseGemm_xdl_cshuffle_v3INS_13tensor_layout4gemm8RowMajorENS3_11ColumnMajorES4_NS_9f8_fnuz_tENS_7pk_i4_tEfDF16_DF16_NS_16tensor_operation12element_wise11PassThroughESA_SA_LNS8_6device18GemmSpecializationE0ELi256ELi128ELi128ELi128ELi16ELi16ELi16ELi16ELi4ELi2ENS_8SequenceIJLi8ELi32ELi1EEEENSD_IJLi1ELi0ELi2EEEESF_Li2ELi16ELi16ELb0ELi0ENSD_IJLi4ELi64ELi1EEEESF_SF_Li2ELi16ELi16ELb0ELi0ELi1ELi1ENSD_IJLi1ELi32ELi1ELi8EEEELi4ELNS_26BlockGemmPipelineSchedulerE1ELNS_24BlockGemmPipelineVersionE1ES6_S6_Lb0ELb1ELb0ELi0ELb0EEELb1ELNS_25InMemoryDataOperationEnumE0ELi2ELNS_10TailNumberE2EEEvNT_8ArgumentE.num_agpr, 0
	.set _ZN2ck27kernel_gemm_xdl_cshuffle_v3INS_28GridwiseGemm_xdl_cshuffle_v3INS_13tensor_layout4gemm8RowMajorENS3_11ColumnMajorES4_NS_9f8_fnuz_tENS_7pk_i4_tEfDF16_DF16_NS_16tensor_operation12element_wise11PassThroughESA_SA_LNS8_6device18GemmSpecializationE0ELi256ELi128ELi128ELi128ELi16ELi16ELi16ELi16ELi4ELi2ENS_8SequenceIJLi8ELi32ELi1EEEENSD_IJLi1ELi0ELi2EEEESF_Li2ELi16ELi16ELb0ELi0ENSD_IJLi4ELi64ELi1EEEESF_SF_Li2ELi16ELi16ELb0ELi0ELi1ELi1ENSD_IJLi1ELi32ELi1ELi8EEEELi4ELNS_26BlockGemmPipelineSchedulerE1ELNS_24BlockGemmPipelineVersionE1ES6_S6_Lb0ELb1ELb0ELi0ELb0EEELb1ELNS_25InMemoryDataOperationEnumE0ELi2ELNS_10TailNumberE2EEEvNT_8ArgumentE.numbered_sgpr, 32
	.set _ZN2ck27kernel_gemm_xdl_cshuffle_v3INS_28GridwiseGemm_xdl_cshuffle_v3INS_13tensor_layout4gemm8RowMajorENS3_11ColumnMajorES4_NS_9f8_fnuz_tENS_7pk_i4_tEfDF16_DF16_NS_16tensor_operation12element_wise11PassThroughESA_SA_LNS8_6device18GemmSpecializationE0ELi256ELi128ELi128ELi128ELi16ELi16ELi16ELi16ELi4ELi2ENS_8SequenceIJLi8ELi32ELi1EEEENSD_IJLi1ELi0ELi2EEEESF_Li2ELi16ELi16ELb0ELi0ENSD_IJLi4ELi64ELi1EEEESF_SF_Li2ELi16ELi16ELb0ELi0ELi1ELi1ENSD_IJLi1ELi32ELi1ELi8EEEELi4ELNS_26BlockGemmPipelineSchedulerE1ELNS_24BlockGemmPipelineVersionE1ES6_S6_Lb0ELb1ELb0ELi0ELb0EEELb1ELNS_25InMemoryDataOperationEnumE0ELi2ELNS_10TailNumberE2EEEvNT_8ArgumentE.num_named_barrier, 0
	.set _ZN2ck27kernel_gemm_xdl_cshuffle_v3INS_28GridwiseGemm_xdl_cshuffle_v3INS_13tensor_layout4gemm8RowMajorENS3_11ColumnMajorES4_NS_9f8_fnuz_tENS_7pk_i4_tEfDF16_DF16_NS_16tensor_operation12element_wise11PassThroughESA_SA_LNS8_6device18GemmSpecializationE0ELi256ELi128ELi128ELi128ELi16ELi16ELi16ELi16ELi4ELi2ENS_8SequenceIJLi8ELi32ELi1EEEENSD_IJLi1ELi0ELi2EEEESF_Li2ELi16ELi16ELb0ELi0ENSD_IJLi4ELi64ELi1EEEESF_SF_Li2ELi16ELi16ELb0ELi0ELi1ELi1ENSD_IJLi1ELi32ELi1ELi8EEEELi4ELNS_26BlockGemmPipelineSchedulerE1ELNS_24BlockGemmPipelineVersionE1ES6_S6_Lb0ELb1ELb0ELi0ELb0EEELb1ELNS_25InMemoryDataOperationEnumE0ELi2ELNS_10TailNumberE2EEEvNT_8ArgumentE.private_seg_size, 0
	.set _ZN2ck27kernel_gemm_xdl_cshuffle_v3INS_28GridwiseGemm_xdl_cshuffle_v3INS_13tensor_layout4gemm8RowMajorENS3_11ColumnMajorES4_NS_9f8_fnuz_tENS_7pk_i4_tEfDF16_DF16_NS_16tensor_operation12element_wise11PassThroughESA_SA_LNS8_6device18GemmSpecializationE0ELi256ELi128ELi128ELi128ELi16ELi16ELi16ELi16ELi4ELi2ENS_8SequenceIJLi8ELi32ELi1EEEENSD_IJLi1ELi0ELi2EEEESF_Li2ELi16ELi16ELb0ELi0ENSD_IJLi4ELi64ELi1EEEESF_SF_Li2ELi16ELi16ELb0ELi0ELi1ELi1ENSD_IJLi1ELi32ELi1ELi8EEEELi4ELNS_26BlockGemmPipelineSchedulerE1ELNS_24BlockGemmPipelineVersionE1ES6_S6_Lb0ELb1ELb0ELi0ELb0EEELb1ELNS_25InMemoryDataOperationEnumE0ELi2ELNS_10TailNumberE2EEEvNT_8ArgumentE.uses_vcc, 1
	.set _ZN2ck27kernel_gemm_xdl_cshuffle_v3INS_28GridwiseGemm_xdl_cshuffle_v3INS_13tensor_layout4gemm8RowMajorENS3_11ColumnMajorES4_NS_9f8_fnuz_tENS_7pk_i4_tEfDF16_DF16_NS_16tensor_operation12element_wise11PassThroughESA_SA_LNS8_6device18GemmSpecializationE0ELi256ELi128ELi128ELi128ELi16ELi16ELi16ELi16ELi4ELi2ENS_8SequenceIJLi8ELi32ELi1EEEENSD_IJLi1ELi0ELi2EEEESF_Li2ELi16ELi16ELb0ELi0ENSD_IJLi4ELi64ELi1EEEESF_SF_Li2ELi16ELi16ELb0ELi0ELi1ELi1ENSD_IJLi1ELi32ELi1ELi8EEEELi4ELNS_26BlockGemmPipelineSchedulerE1ELNS_24BlockGemmPipelineVersionE1ES6_S6_Lb0ELb1ELb0ELi0ELb0EEELb1ELNS_25InMemoryDataOperationEnumE0ELi2ELNS_10TailNumberE2EEEvNT_8ArgumentE.uses_flat_scratch, 0
	.set _ZN2ck27kernel_gemm_xdl_cshuffle_v3INS_28GridwiseGemm_xdl_cshuffle_v3INS_13tensor_layout4gemm8RowMajorENS3_11ColumnMajorES4_NS_9f8_fnuz_tENS_7pk_i4_tEfDF16_DF16_NS_16tensor_operation12element_wise11PassThroughESA_SA_LNS8_6device18GemmSpecializationE0ELi256ELi128ELi128ELi128ELi16ELi16ELi16ELi16ELi4ELi2ENS_8SequenceIJLi8ELi32ELi1EEEENSD_IJLi1ELi0ELi2EEEESF_Li2ELi16ELi16ELb0ELi0ENSD_IJLi4ELi64ELi1EEEESF_SF_Li2ELi16ELi16ELb0ELi0ELi1ELi1ENSD_IJLi1ELi32ELi1ELi8EEEELi4ELNS_26BlockGemmPipelineSchedulerE1ELNS_24BlockGemmPipelineVersionE1ES6_S6_Lb0ELb1ELb0ELi0ELb0EEELb1ELNS_25InMemoryDataOperationEnumE0ELi2ELNS_10TailNumberE2EEEvNT_8ArgumentE.has_dyn_sized_stack, 0
	.set _ZN2ck27kernel_gemm_xdl_cshuffle_v3INS_28GridwiseGemm_xdl_cshuffle_v3INS_13tensor_layout4gemm8RowMajorENS3_11ColumnMajorES4_NS_9f8_fnuz_tENS_7pk_i4_tEfDF16_DF16_NS_16tensor_operation12element_wise11PassThroughESA_SA_LNS8_6device18GemmSpecializationE0ELi256ELi128ELi128ELi128ELi16ELi16ELi16ELi16ELi4ELi2ENS_8SequenceIJLi8ELi32ELi1EEEENSD_IJLi1ELi0ELi2EEEESF_Li2ELi16ELi16ELb0ELi0ENSD_IJLi4ELi64ELi1EEEESF_SF_Li2ELi16ELi16ELb0ELi0ELi1ELi1ENSD_IJLi1ELi32ELi1ELi8EEEELi4ELNS_26BlockGemmPipelineSchedulerE1ELNS_24BlockGemmPipelineVersionE1ES6_S6_Lb0ELb1ELb0ELi0ELb0EEELb1ELNS_25InMemoryDataOperationEnumE0ELi2ELNS_10TailNumberE2EEEvNT_8ArgumentE.has_recursion, 0
	.set _ZN2ck27kernel_gemm_xdl_cshuffle_v3INS_28GridwiseGemm_xdl_cshuffle_v3INS_13tensor_layout4gemm8RowMajorENS3_11ColumnMajorES4_NS_9f8_fnuz_tENS_7pk_i4_tEfDF16_DF16_NS_16tensor_operation12element_wise11PassThroughESA_SA_LNS8_6device18GemmSpecializationE0ELi256ELi128ELi128ELi128ELi16ELi16ELi16ELi16ELi4ELi2ENS_8SequenceIJLi8ELi32ELi1EEEENSD_IJLi1ELi0ELi2EEEESF_Li2ELi16ELi16ELb0ELi0ENSD_IJLi4ELi64ELi1EEEESF_SF_Li2ELi16ELi16ELb0ELi0ELi1ELi1ENSD_IJLi1ELi32ELi1ELi8EEEELi4ELNS_26BlockGemmPipelineSchedulerE1ELNS_24BlockGemmPipelineVersionE1ES6_S6_Lb0ELb1ELb0ELi0ELb0EEELb1ELNS_25InMemoryDataOperationEnumE0ELi2ELNS_10TailNumberE2EEEvNT_8ArgumentE.has_indirect_call, 0
	.section	.AMDGPU.csdata,"",@progbits
; Kernel info:
; codeLenInByte = 11224
; TotalNumSgprs: 34
; NumVgprs: 232
; ScratchSize: 0
; MemoryBound: 0
; FloatMode: 240
; IeeeMode: 1
; LDSByteSize: 24576 bytes/workgroup (compile time only)
; SGPRBlocks: 0
; VGPRBlocks: 28
; NumSGPRsForWavesPerEU: 34
; NumVGPRsForWavesPerEU: 232
; Occupancy: 6
; WaveLimiterHint : 0
; COMPUTE_PGM_RSRC2:SCRATCH_EN: 0
; COMPUTE_PGM_RSRC2:USER_SGPR: 2
; COMPUTE_PGM_RSRC2:TRAP_HANDLER: 0
; COMPUTE_PGM_RSRC2:TGID_X_EN: 1
; COMPUTE_PGM_RSRC2:TGID_Y_EN: 0
; COMPUTE_PGM_RSRC2:TGID_Z_EN: 1
; COMPUTE_PGM_RSRC2:TIDIG_COMP_CNT: 0
	.section	.text._ZN2ck27kernel_gemm_xdl_cshuffle_v3INS_28GridwiseGemm_xdl_cshuffle_v3INS_13tensor_layout4gemm8RowMajorENS3_11ColumnMajorES4_NS_9f8_fnuz_tENS_7pk_i4_tEfDF16_DF16_NS_16tensor_operation12element_wise11PassThroughESA_SA_LNS8_6device18GemmSpecializationE0ELi256ELi128ELi128ELi128ELi16ELi16ELi16ELi16ELi4ELi2ENS_8SequenceIJLi8ELi32ELi1EEEENSD_IJLi1ELi0ELi2EEEESF_Li2ELi16ELi16ELb0ELi0ENSD_IJLi4ELi64ELi1EEEESF_SF_Li2ELi16ELi16ELb0ELi0ELi1ELi1ENSD_IJLi1ELi32ELi1ELi8EEEELi4ELNS_26BlockGemmPipelineSchedulerE1ELNS_24BlockGemmPipelineVersionE1ES6_S6_Lb0ELb1ELb0ELi0ELb0EEELb1ELNS_25InMemoryDataOperationEnumE0ELi2ELNS_10TailNumberE10EEEvNT_8ArgumentE,"axG",@progbits,_ZN2ck27kernel_gemm_xdl_cshuffle_v3INS_28GridwiseGemm_xdl_cshuffle_v3INS_13tensor_layout4gemm8RowMajorENS3_11ColumnMajorES4_NS_9f8_fnuz_tENS_7pk_i4_tEfDF16_DF16_NS_16tensor_operation12element_wise11PassThroughESA_SA_LNS8_6device18GemmSpecializationE0ELi256ELi128ELi128ELi128ELi16ELi16ELi16ELi16ELi4ELi2ENS_8SequenceIJLi8ELi32ELi1EEEENSD_IJLi1ELi0ELi2EEEESF_Li2ELi16ELi16ELb0ELi0ENSD_IJLi4ELi64ELi1EEEESF_SF_Li2ELi16ELi16ELb0ELi0ELi1ELi1ENSD_IJLi1ELi32ELi1ELi8EEEELi4ELNS_26BlockGemmPipelineSchedulerE1ELNS_24BlockGemmPipelineVersionE1ES6_S6_Lb0ELb1ELb0ELi0ELb0EEELb1ELNS_25InMemoryDataOperationEnumE0ELi2ELNS_10TailNumberE10EEEvNT_8ArgumentE,comdat
	.protected	_ZN2ck27kernel_gemm_xdl_cshuffle_v3INS_28GridwiseGemm_xdl_cshuffle_v3INS_13tensor_layout4gemm8RowMajorENS3_11ColumnMajorES4_NS_9f8_fnuz_tENS_7pk_i4_tEfDF16_DF16_NS_16tensor_operation12element_wise11PassThroughESA_SA_LNS8_6device18GemmSpecializationE0ELi256ELi128ELi128ELi128ELi16ELi16ELi16ELi16ELi4ELi2ENS_8SequenceIJLi8ELi32ELi1EEEENSD_IJLi1ELi0ELi2EEEESF_Li2ELi16ELi16ELb0ELi0ENSD_IJLi4ELi64ELi1EEEESF_SF_Li2ELi16ELi16ELb0ELi0ELi1ELi1ENSD_IJLi1ELi32ELi1ELi8EEEELi4ELNS_26BlockGemmPipelineSchedulerE1ELNS_24BlockGemmPipelineVersionE1ES6_S6_Lb0ELb1ELb0ELi0ELb0EEELb1ELNS_25InMemoryDataOperationEnumE0ELi2ELNS_10TailNumberE10EEEvNT_8ArgumentE ; -- Begin function _ZN2ck27kernel_gemm_xdl_cshuffle_v3INS_28GridwiseGemm_xdl_cshuffle_v3INS_13tensor_layout4gemm8RowMajorENS3_11ColumnMajorES4_NS_9f8_fnuz_tENS_7pk_i4_tEfDF16_DF16_NS_16tensor_operation12element_wise11PassThroughESA_SA_LNS8_6device18GemmSpecializationE0ELi256ELi128ELi128ELi128ELi16ELi16ELi16ELi16ELi4ELi2ENS_8SequenceIJLi8ELi32ELi1EEEENSD_IJLi1ELi0ELi2EEEESF_Li2ELi16ELi16ELb0ELi0ENSD_IJLi4ELi64ELi1EEEESF_SF_Li2ELi16ELi16ELb0ELi0ELi1ELi1ENSD_IJLi1ELi32ELi1ELi8EEEELi4ELNS_26BlockGemmPipelineSchedulerE1ELNS_24BlockGemmPipelineVersionE1ES6_S6_Lb0ELb1ELb0ELi0ELb0EEELb1ELNS_25InMemoryDataOperationEnumE0ELi2ELNS_10TailNumberE10EEEvNT_8ArgumentE
	.globl	_ZN2ck27kernel_gemm_xdl_cshuffle_v3INS_28GridwiseGemm_xdl_cshuffle_v3INS_13tensor_layout4gemm8RowMajorENS3_11ColumnMajorES4_NS_9f8_fnuz_tENS_7pk_i4_tEfDF16_DF16_NS_16tensor_operation12element_wise11PassThroughESA_SA_LNS8_6device18GemmSpecializationE0ELi256ELi128ELi128ELi128ELi16ELi16ELi16ELi16ELi4ELi2ENS_8SequenceIJLi8ELi32ELi1EEEENSD_IJLi1ELi0ELi2EEEESF_Li2ELi16ELi16ELb0ELi0ENSD_IJLi4ELi64ELi1EEEESF_SF_Li2ELi16ELi16ELb0ELi0ELi1ELi1ENSD_IJLi1ELi32ELi1ELi8EEEELi4ELNS_26BlockGemmPipelineSchedulerE1ELNS_24BlockGemmPipelineVersionE1ES6_S6_Lb0ELb1ELb0ELi0ELb0EEELb1ELNS_25InMemoryDataOperationEnumE0ELi2ELNS_10TailNumberE10EEEvNT_8ArgumentE
	.p2align	8
	.type	_ZN2ck27kernel_gemm_xdl_cshuffle_v3INS_28GridwiseGemm_xdl_cshuffle_v3INS_13tensor_layout4gemm8RowMajorENS3_11ColumnMajorES4_NS_9f8_fnuz_tENS_7pk_i4_tEfDF16_DF16_NS_16tensor_operation12element_wise11PassThroughESA_SA_LNS8_6device18GemmSpecializationE0ELi256ELi128ELi128ELi128ELi16ELi16ELi16ELi16ELi4ELi2ENS_8SequenceIJLi8ELi32ELi1EEEENSD_IJLi1ELi0ELi2EEEESF_Li2ELi16ELi16ELb0ELi0ENSD_IJLi4ELi64ELi1EEEESF_SF_Li2ELi16ELi16ELb0ELi0ELi1ELi1ENSD_IJLi1ELi32ELi1ELi8EEEELi4ELNS_26BlockGemmPipelineSchedulerE1ELNS_24BlockGemmPipelineVersionE1ES6_S6_Lb0ELb1ELb0ELi0ELb0EEELb1ELNS_25InMemoryDataOperationEnumE0ELi2ELNS_10TailNumberE10EEEvNT_8ArgumentE,@function
_ZN2ck27kernel_gemm_xdl_cshuffle_v3INS_28GridwiseGemm_xdl_cshuffle_v3INS_13tensor_layout4gemm8RowMajorENS3_11ColumnMajorES4_NS_9f8_fnuz_tENS_7pk_i4_tEfDF16_DF16_NS_16tensor_operation12element_wise11PassThroughESA_SA_LNS8_6device18GemmSpecializationE0ELi256ELi128ELi128ELi128ELi16ELi16ELi16ELi16ELi4ELi2ENS_8SequenceIJLi8ELi32ELi1EEEENSD_IJLi1ELi0ELi2EEEESF_Li2ELi16ELi16ELb0ELi0ENSD_IJLi4ELi64ELi1EEEESF_SF_Li2ELi16ELi16ELb0ELi0ELi1ELi1ENSD_IJLi1ELi32ELi1ELi8EEEELi4ELNS_26BlockGemmPipelineSchedulerE1ELNS_24BlockGemmPipelineVersionE1ES6_S6_Lb0ELb1ELb0ELi0ELb0EEELb1ELNS_25InMemoryDataOperationEnumE0ELi2ELNS_10TailNumberE10EEEvNT_8ArgumentE: ; @_ZN2ck27kernel_gemm_xdl_cshuffle_v3INS_28GridwiseGemm_xdl_cshuffle_v3INS_13tensor_layout4gemm8RowMajorENS3_11ColumnMajorES4_NS_9f8_fnuz_tENS_7pk_i4_tEfDF16_DF16_NS_16tensor_operation12element_wise11PassThroughESA_SA_LNS8_6device18GemmSpecializationE0ELi256ELi128ELi128ELi128ELi16ELi16ELi16ELi16ELi4ELi2ENS_8SequenceIJLi8ELi32ELi1EEEENSD_IJLi1ELi0ELi2EEEESF_Li2ELi16ELi16ELb0ELi0ENSD_IJLi4ELi64ELi1EEEESF_SF_Li2ELi16ELi16ELb0ELi0ELi1ELi1ENSD_IJLi1ELi32ELi1ELi8EEEELi4ELNS_26BlockGemmPipelineSchedulerE1ELNS_24BlockGemmPipelineVersionE1ES6_S6_Lb0ELb1ELb0ELi0ELb0EEELb1ELNS_25InMemoryDataOperationEnumE0ELi2ELNS_10TailNumberE10EEEvNT_8ArgumentE
; %bb.0:
	s_clause 0x4
	s_load_b96 s[16:18], s[0:1], 0x20
	s_load_b96 s[20:22], s[0:1], 0x60
	s_load_b128 s[4:7], s[0:1], 0x10
	s_load_b32 s26, s[0:1], 0x3c
	s_load_b128 s[12:15], s[0:1], 0x50
	s_lshr_b32 s2, ttmp7, 16
	s_mov_b32 s3, ttmp9
	s_mov_b64 s[24:25], 0
	s_wait_kmcnt 0x0
	s_cmp_gt_i32 s18, 1
	s_cselect_b32 s8, -1, 0
	s_bitcmp1_b32 s22, 0
	s_cselect_b32 s9, -1, 0
	s_delay_alu instid0(SALU_CYCLE_1) | instskip(NEXT) | instid1(SALU_CYCLE_1)
	s_and_b32 s8, s8, s9
	s_and_not1_b32 vcc_lo, exec_lo, s8
	s_cbranch_vccnz .LBB8_2
; %bb.1:
	s_mul_i32 s8, s4, s2
	s_delay_alu instid0(SALU_CYCLE_1) | instskip(NEXT) | instid1(SALU_CYCLE_1)
	s_mul_i32 s24, s8, s5
	s_ashr_i32 s25, s24, 31
.LBB8_2:
	s_load_b32 s1, s[0:1], 0x34
	s_add_co_i32 s23, s4, -1
	s_mov_b32 s22, 0
	s_cmp_lt_u32 s23, 0x80
	s_cbranch_scc1 .LBB8_6
; %bb.3:
	s_add_co_i32 s0, s5, -1
	s_delay_alu instid0(SALU_CYCLE_1)
	s_cmp_lt_u32 s0, 0x80
	s_mov_b32 s0, 0
	s_cbranch_scc1 .LBB8_10
; %bb.4:
	s_add_co_i32 s0, s4, 0x7f
	s_add_co_i32 s8, s5, 0x7f
	s_ashr_i32 s9, s0, 31
	s_ashr_i32 s10, s8, 31
	s_lshr_b32 s9, s9, 25
	s_lshr_b32 s10, s10, 25
	s_add_co_i32 s0, s0, s9
	s_add_co_i32 s9, s8, s10
	s_ashr_i32 s8, s0, 7
	s_ashr_i32 s0, s9, 7
	;; [unrolled: 1-line block ×3, first 2 shown]
	s_mul_i32 s9, s0, s8
	s_delay_alu instid0(SALU_CYCLE_1) | instskip(NEXT) | instid1(SALU_CYCLE_1)
	s_add_co_i32 s10, s9, 7
	s_ashr_i32 s11, s10, 31
	s_delay_alu instid0(SALU_CYCLE_1) | instskip(NEXT) | instid1(SALU_CYCLE_1)
	s_lshr_b32 s11, s11, 29
	s_add_co_i32 s11, s10, s11
	s_lshr_b32 s10, s19, 29
	s_and_b32 s27, s11, -8
	s_add_co_i32 s19, s3, s10
	s_sub_co_i32 s9, s9, s27
	s_and_b32 s10, s19, -8
	s_add_co_i32 s9, s9, 8
	s_sub_co_i32 s10, s3, s10
	s_ashr_i32 s11, s11, 3
	s_cmp_gt_i32 s10, s9
	s_cbranch_scc1 .LBB8_7
; %bb.5:
	s_mul_i32 s3, s11, s10
	s_ashr_i32 s19, s19, 3
	s_cbranch_execz .LBB8_8
	s_branch .LBB8_9
.LBB8_6:
	s_mov_b32 s19, s22
	s_branch .LBB8_11
.LBB8_7:
                                        ; implicit-def: $sgpr3
	s_ashr_i32 s19, s19, 3
.LBB8_8:
	s_add_co_i32 s3, s11, -1
	s_delay_alu instid0(SALU_CYCLE_1) | instskip(NEXT) | instid1(SALU_CYCLE_1)
	s_mul_i32 s3, s3, s10
	s_add_co_i32 s3, s9, s3
.LBB8_9:
	s_abs_i32 s9, s0
	s_add_co_i32 s3, s3, s19
	s_cvt_f32_u32 s10, s9
	s_sub_co_i32 s11, 0, s9
	s_abs_i32 s19, s3
	s_delay_alu instid0(SALU_CYCLE_1) | instskip(NEXT) | instid1(TRANS32_DEP_1)
	v_rcp_iflag_f32_e32 v1, s10
	v_readfirstlane_b32 s10, v1
	s_mul_f32 s10, s10, 0x4f7ffffe
	s_wait_alu 0xfffe
	s_delay_alu instid0(SALU_CYCLE_2) | instskip(SKIP_1) | instid1(SALU_CYCLE_2)
	s_cvt_u32_f32 s10, s10
	s_wait_alu 0xfffe
	s_mul_i32 s11, s11, s10
	s_wait_alu 0xfffe
	s_mul_hi_u32 s11, s10, s11
	s_wait_alu 0xfffe
	s_add_co_i32 s10, s10, s11
	s_xor_b32 s11, s3, s0
	s_wait_alu 0xfffe
	s_mul_hi_u32 s10, s19, s10
	s_ashr_i32 s11, s11, 31
	s_wait_alu 0xfffe
	s_mul_i32 s27, s10, s9
	s_delay_alu instid0(SALU_CYCLE_1)
	s_sub_co_i32 s19, s19, s27
	s_add_co_i32 s27, s10, 1
	s_sub_co_i32 s28, s19, s9
	s_cmp_ge_u32 s19, s9
	s_cselect_b32 s10, s27, s10
	s_cselect_b32 s19, s28, s19
	s_wait_alu 0xfffe
	s_add_co_i32 s27, s10, 1
	s_cmp_ge_u32 s19, s9
	s_cselect_b32 s9, s27, s10
	s_lshr_b32 s10, s8, 30
	s_xor_b32 s9, s9, s11
	s_wait_alu 0xfffe
	s_add_co_i32 s10, s8, s10
	s_sub_co_i32 s9, s9, s11
	s_wait_alu 0xfffe
	s_and_b32 s10, s10, -4
	s_mul_i32 s11, s9, s0
	s_wait_alu 0xfffe
	s_sub_co_i32 s8, s8, s10
	s_sub_co_i32 s3, s3, s11
	s_cmp_ge_i32 s9, s10
	s_cselect_b32 s8, s8, 4
	s_ashr_i32 s19, s9, 31
	s_abs_i32 s10, s8
	s_lshr_b32 s19, s19, 30
	s_wait_alu 0xfffe
	s_cvt_f32_u32 s11, s10
	s_add_co_i32 s19, s9, s19
	s_sub_co_i32 s27, 0, s10
	s_and_b32 s19, s19, -4
	s_wait_alu 0xfffe
	v_rcp_iflag_f32_e32 v1, s11
	s_sub_co_i32 s19, s9, s19
	s_delay_alu instid0(SALU_CYCLE_1) | instskip(NEXT) | instid1(SALU_CYCLE_1)
	s_mul_i32 s0, s19, s0
	s_add_co_i32 s3, s0, s3
	s_delay_alu instid0(TRANS32_DEP_1) | instskip(SKIP_2) | instid1(SALU_CYCLE_2)
	v_readfirstlane_b32 s11, v1
	s_mul_f32 s11, s11, 0x4f7ffffe
	s_wait_alu 0xfffe
	s_cvt_u32_f32 s11, s11
	s_wait_alu 0xfffe
	s_delay_alu instid0(SALU_CYCLE_2) | instskip(NEXT) | instid1(SALU_CYCLE_1)
	s_mul_i32 s27, s27, s11
	s_mul_hi_u32 s0, s11, s27
	s_abs_i32 s27, s3
	s_add_co_i32 s11, s11, s0
	s_wait_alu 0xfffe
	s_mul_hi_u32 s0, s27, s11
	s_xor_b32 s11, s3, s8
	s_mul_i32 s28, s0, s10
	s_wait_alu 0xfffe
	s_ashr_i32 s11, s11, 31
	s_sub_co_i32 s27, s27, s28
	s_add_co_i32 s28, s0, 1
	s_sub_co_i32 s29, s27, s10
	s_cmp_ge_u32 s27, s10
	s_cselect_b32 s0, s28, s0
	s_cselect_b32 s27, s29, s27
	s_add_co_i32 s28, s0, 1
	s_cmp_ge_u32 s27, s10
	s_cselect_b32 s0, s28, s0
	s_wait_alu 0xfffe
	s_xor_b32 s0, s0, s11
	s_delay_alu instid0(SALU_CYCLE_1) | instskip(NEXT) | instid1(SALU_CYCLE_1)
	s_sub_co_i32 s0, s0, s11
	s_mul_i32 s8, s0, s8
	s_delay_alu instid0(SALU_CYCLE_1) | instskip(NEXT) | instid1(SALU_CYCLE_1)
	s_sub_co_i32 s3, s3, s8
	s_add_co_i32 s3, s3, s9
	s_delay_alu instid0(SALU_CYCLE_1)
	s_sub_co_i32 s3, s3, s19
.LBB8_10:
	s_delay_alu instid0(SALU_CYCLE_1)
	s_mov_b32 s19, s3
	s_mov_b32 s3, s0
.LBB8_11:
	v_dual_mov_b32 v194, 16 :: v_dual_lshlrev_b32 v1, 1, v0
	s_wait_kmcnt 0x0
	s_mul_i32 s0, s1, s2
	s_add_co_i32 s11, s18, -1
	v_lshrrev_b32_e32 v169, 1, v0
	v_and_b32_e32 v192, 6, v1
	s_mul_i32 s27, s0, s5
	s_wait_alu 0xfffe
	s_mul_i32 s29, s11, s1
	s_lshr_b32 s28, s27, 1
	s_sub_co_i32 s6, s6, s29
	v_or_b32_e32 v1, 1, v192
	s_cmp_lt_u32 s2, s11
	v_dual_mov_b32 v208, 2 :: v_dual_and_b32 v89, 0x7c, v169
	s_cselect_b32 s11, s1, s6
	s_lshl_b32 s6, s3, 7
	v_lshlrev_b32_e32 v3, 4, v192
	v_and_or_b32 v2, 0x7e, v169, s6
	v_sub_nc_u32_e32 v4, v1, v192
	v_lshl_or_b32 v91, s19, 7, v89
	v_and_b32_e32 v90, 7, v0
	s_ashr_i32 s2, s16, 31
	v_lshl_or_b32 v2, v2, 7, v3
	v_lshlrev_b32_e32 v3, 4, v4
	v_mul_lo_u32 v191, v91, s7
	v_lshlrev_b32_e32 v193, 4, v90
	s_lshr_b32 s2, s2, 25
	s_delay_alu instid0(VALU_DEP_3) | instskip(SKIP_3) | instid1(VALU_DEP_3)
	v_dual_mov_b32 v17, 0 :: v_dual_add_nc_u32 v4, v2, v3
	s_mov_b32 s8, s7
	s_mov_b32 s9, s22
	s_add_co_i32 s2, s16, s2
	v_add_nc_u32_e32 v5, v191, v193
	v_add_nc_u32_e32 v7, 0x80, v4
	s_mov_b32 s10, s22
	s_mul_u64 s[8:9], s[22:23], s[8:9]
	s_ashr_i32 s1, s0, 31
	s_mov_b32 s29, s22
	s_ashr_i32 s2, s2, 7
	v_ashrrev_i32_e32 v8, 1, v7
	s_mov_b32 s18, 0x31004000
	s_add_nc_u64 s[0:1], s[12:13], s[0:1]
	s_wait_alu 0xfffe
	s_add_nc_u64 s[12:13], s[10:11], s[8:9]
	v_dual_mov_b32 v25, 0 :: v_dual_add_nc_u32 v6, s7, v5
	s_add_nc_u64 s[8:9], s[14:15], s[28:29]
	s_mul_i32 s2, s5, s2
	v_sub_nc_u32_e32 v1, v192, v1
	s_mov_b32 s3, s18
	s_and_b32 s1, s1, 0xffff
	s_mov_b32 s11, s18
	s_and_b32 s9, s9, 0xffff
	s_lshl_b32 s10, s2, 6
	s_mov_b32 s2, s13
	buffer_load_b64 v[81:82], v8, s[8:11], null offen
	s_clause 0x1
	buffer_load_b128 v[49:52], v5, s[0:3], null offen
	buffer_load_b128 v[53:56], v6, s[0:3], null offen
	v_lshlrev_b32_e32 v1, 4, v1
	s_lshl_b32 s12, s5, 7
	v_add_nc_u32_e32 v9, s7, v6
	s_add_co_i32 s14, s12, 0xffffff80
	v_mov_b32_e32 v41, 0
	v_add_nc_u32_e32 v7, v7, v1
	s_mul_i32 s15, s7, -3
	v_add_nc_u32_e32 v5, s7, v9
	s_clause 0x1
	buffer_load_b128 v[57:60], v9, s[0:3], null offen
	buffer_load_b128 v[61:64], v5, s[0:3], null offen
	v_add_nc_u32_e32 v8, s14, v7
	v_add3_u32 v5, 0x80, s15, v5
	v_ashrrev_i32_e32 v2, 1, v2
	v_ashrrev_i32_e32 v7, 1, v7
	;; [unrolled: 1-line block ×3, first 2 shown]
	v_add_nc_u32_e32 v3, v8, v3
	v_mov_b32_e32 v33, 0
	s_clause 0x2
	buffer_load_b64 v[83:84], v2, s[8:11], null offen
	buffer_load_b64 v[85:86], v7, s[8:11], null offen
	;; [unrolled: 1-line block ×3, first 2 shown]
	v_ashrrev_i32_e32 v8, 1, v8
	v_lshrrev_b32_e32 v170, 3, v0
	v_add_nc_u32_e32 v6, 0x80, v3
	v_lshrrev_b32_e32 v2, 31, v3
	v_bfe_u32 v93, v0, 2, 4
	v_or_b32_e32 v98, 3, v169
	v_or_b32_e32 v113, 3, v91
	v_add_nc_u32_e32 v92, v6, v1
	v_add_nc_u32_e32 v1, s7, v5
	v_lshrrev_b32_e32 v4, 31, v6
	v_add_nc_u32_e32 v2, v3, v2
	s_clause 0x1
	buffer_load_b128 v[77:80], v5, s[0:3], null offen
	buffer_load_b128 v[73:76], v1, s[0:3], null offen
	v_lshrrev_b32_e32 v7, 31, v92
	v_add_nc_u32_e32 v9, s7, v1
	v_add_nc_u32_e32 v3, v6, v4
	v_ashrrev_i32_e32 v2, 1, v2
	v_xor_b32_e32 v98, v98, v0
	v_add_nc_u32_e32 v4, v92, v7
	v_add_nc_u32_e32 v1, s7, v9
	v_ashrrev_i32_e32 v3, 1, v3
	v_mul_lo_u32 v198, s7, v113
	v_and_b32_e32 v98, 7, v98
	v_ashrrev_i32_e32 v4, 1, v4
	s_clause 0x1
	buffer_load_b128 v[69:72], v9, s[0:3], null offen
	buffer_load_b128 v[65:68], v1, s[0:3], null offen
	s_clause 0x3
	buffer_load_b64 v[145:146], v8, s[8:11], null offen
	buffer_load_b64 v[147:148], v2, s[8:11], null offen
	buffer_load_b64 v[149:150], v3, s[8:11], null offen
	buffer_load_b64 v[151:152], v4, s[8:11], null offen
	v_dual_mov_b32 v2, 0 :: v_dual_lshlrev_b32 v5, 2, v0
	v_and_b32_e32 v4, 15, v0
	v_dual_mov_b32 v1, 0 :: v_dual_and_b32 v94, 4, v169
	s_delay_alu instid0(VALU_DEP_3) | instskip(NEXT) | instid1(VALU_DEP_4)
	v_mov_b32_e32 v28, v2
	v_dual_mov_b32 v11, v2 :: v_dual_and_b32 v96, 64, v5
	v_mov_b32_e32 v5, v2
	v_and_or_b32 v171, v170, 16, v4
	v_mov_b32_e32 v7, v2
	s_delay_alu instid0(VALU_DEP_4)
	v_lshrrev_b32_e32 v101, 4, v96
	v_or_b32_e32 v104, 1, v94
	v_mov_b32_e32 v9, 0
	v_dual_mov_b32 v45, v2 :: v_dual_lshlrev_b32 v100, 1, v192
	v_dual_mov_b32 v47, v2 :: v_dual_lshlrev_b32 v102, 7, v171
	v_xor_b32_e32 v99, v94, v90
	v_xor_b32_e32 v107, v101, v90
	;; [unrolled: 1-line block ×3, first 2 shown]
	v_lshrrev_b32_e32 v3, 2, v0
	v_and_or_b32 v97, v169, 48, v4
	v_lshrrev_b32_e32 v96, 3, v96
	v_or_b32_e32 v105, 2, v94
	v_or_b32_e32 v94, 3, v94
	v_xor_b32_e32 v106, v100, v93
	v_or_b32_e32 v108, 1, v100
	v_or_b32_e32 v109, 3, v100
	;; [unrolled: 1-line block ×6, first 2 shown]
	v_lshl_or_b32 v178, v107, 4, v102
	v_sub_nc_u32_e32 v102, v104, v99
	v_dual_mov_b32 v30, v2 :: v_dual_lshlrev_b32 v95, 8, v3
	v_mov_b32_e32 v39, v2
	v_lshlrev_b32_e32 v89, 7, v89
	v_lshrrev_b32_e32 v103, 1, v97
	v_bfe_u32 v97, v97, 1, 4
	v_and_or_b32 v96, v0, 1, v96
	v_xor_b32_e32 v105, v105, v90
	v_xor_b32_e32 v94, v94, v90
	;; [unrolled: 1-line block ×8, first 2 shown]
	v_sub_nc_u32_e32 v110, v110, v101
	v_sub_nc_u32_e32 v111, v111, v101
	;; [unrolled: 1-line block ×3, first 2 shown]
	v_lshlrev_b32_e32 v186, 4, v102
	v_lshl_or_b32 v89, v99, 4, v89
	v_lshl_or_b32 v207, v106, 4, v95
	v_xor_b32_e32 v95, v97, v96
	v_sub_nc_u32_e32 v112, v93, v106
	v_sub_nc_u32_e32 v100, v100, v107
	;; [unrolled: 1-line block ×4, first 2 shown]
	v_lshl_add_u32 v107, v110, 1, v96
	v_lshl_add_u32 v110, v111, 1, v96
	;; [unrolled: 1-line block ×3, first 2 shown]
	v_sub_nc_u32_e32 v101, v93, v109
	v_sub_nc_u32_e32 v93, v106, v93
	v_add_nc_u32_e32 v201, 0x80, v186
	v_mov_b32_e32 v35, v2
	v_lshlrev_b32_e32 v103, 8, v103
	v_or_b32_e32 v91, 2, v91
	v_sub_nc_u32_e32 v104, v105, v104
	v_lshlrev_b32_e32 v204, 4, v93
	v_add_nc_u32_e32 v93, v201, v89
	v_sub_nc_u32_e32 v114, v94, v105
	v_sub_nc_u32_e32 v105, v98, v105
	;; [unrolled: 1-line block ×3, first 2 shown]
	v_mul_lo_u32 v199, s7, v91
	v_lshlrev_b32_e32 v184, 4, v104
	v_sub_nc_u32_e32 v104, v109, v106
	v_xor_b32_e32 v96, v96, v97
	v_lshl_add_u32 v187, v98, 4, 0xfffffe80
	v_sub_nc_u32_e32 v98, v109, v108
	v_sub_nc_u32_e32 v94, v99, v94
	v_lshlrev_b32_e32 v99, 4, v114
	v_lshlrev_b32_e32 v185, 4, v105
	v_lshlrev_b32_e32 v100, 4, v100
	v_lshlrev_b32_e32 v105, 4, v113
	v_lshlrev_b32_e32 v90, 4, v90
	v_lshlrev_b32_e32 v190, 4, v98
	v_lshlrev_b32_e32 v189, 4, v101
	v_lshlrev_b32_e32 v94, 4, v94
	v_add_nc_u32_e32 v183, v100, v178
	v_add_nc_u32_e32 v181, v105, v178
	;; [unrolled: 1-line block ×3, first 2 shown]
	v_or3_b32 v195, 0, 0, 0
	v_add_nc_u32_e32 v209, s14, v92
	v_lshrrev_b32_e32 v102, 1, v207
	s_ashr_i32 s2, s26, 31
	v_mov_b32_e32 v3, v2
	s_lshr_b32 s2, s2, 29
	v_mov_b32_e32 v4, v2
	s_add_co_i32 s26, s26, s2
	v_mov_b32_e32 v6, v2
	v_mov_b32_e32 v8, v2
	;; [unrolled: 1-line block ×3, first 2 shown]
	v_dual_mov_b32 v12, v2 :: v_dual_mov_b32 v13, v2
	v_mov_b32_e32 v32, v2
	v_dual_mov_b32 v14, v2 :: v_dual_mov_b32 v15, v2
	v_mov_b32_e32 v42, v2
	v_mov_b32_e32 v16, v2
	v_dual_mov_b32 v18, v2 :: v_dual_mov_b32 v19, v2
	v_mov_b32_e32 v44, v2
	v_dual_mov_b32 v20, v2 :: v_dual_mov_b32 v21, v2
	;; [unrolled: 2-line block ×3, first 2 shown]
	v_mov_b32_e32 v48, v2
	v_mov_b32_e32 v24, v2
	v_dual_mov_b32 v26, v2 :: v_dual_mov_b32 v27, v2
	v_dual_mov_b32 v34, v2 :: v_dual_mov_b32 v29, v2
	;; [unrolled: 1-line block ×5, first 2 shown]
	v_add_nc_u32_e32 v200, s7, v191
	v_or_b32_e32 v196, 16, v192
	v_or_b32_e32 v197, 17, v192
	s_mov_b32 s2, s13
	s_ashr_i32 s13, s26, 3
	s_mov_b32 s7, s22
	s_add_co_i32 s13, s13, -2
	s_wait_loadcnt 0xe
	ds_store_b128 v89, v[49:52]
	s_wait_loadcnt 0xd
	ds_store_b128 v93, v[53:56]
	v_mov_b32_e32 v52, v2
	v_lshl_or_b32 v91, v95, 4, v103
	v_sub_nc_u32_e32 v103, v108, v106
	v_xor_b32_e32 v106, v107, v97
	v_xor_b32_e32 v107, v110, v97
	v_dual_mov_b32 v51, v2 :: v_dual_add_nc_u32 v202, 0x80, v184
	s_delay_alu instid0(VALU_DEP_4) | instskip(NEXT) | instid1(VALU_DEP_4)
	v_dual_mov_b32 v55, v2 :: v_dual_lshlrev_b32 v188, 4, v103
	v_sub_nc_u32_e32 v106, v106, v95
	s_delay_alu instid0(VALU_DEP_4) | instskip(NEXT) | instid1(VALU_DEP_4)
	v_sub_nc_u32_e32 v107, v107, v95
	v_add_nc_u32_e32 v98, v201, v202
	v_sub_nc_u32_e32 v95, v96, v95
	v_add_nc_u32_e32 v101, v188, v207
	v_or_b32_e32 v97, 0x2000, v91
	v_add_nc_u32_e32 v96, v202, v93
	v_lshlrev_b32_e32 v105, 4, v107
	v_lshlrev_b32_e32 v95, 4, v95
	v_ashrrev_i32_e32 v100, 1, v101
	v_dual_mov_b32 v54, v2 :: v_dual_lshlrev_b32 v101, 4, v106
	v_add3_u32 v90, v98, v89, v99
	v_lshrrev_b32_e32 v180, 1, v91
	v_dual_mov_b32 v53, v2 :: v_dual_and_b32 v92, 0xff, v82
	v_lshl_add_u32 v103, v104, 4, v207
	s_delay_alu instid0(VALU_DEP_4)
	v_add3_u32 v205, v90, v94, 0xffffff00
	v_add_nc_u32_e32 v90, v96, v99
	v_add_nc_u32_e32 v94, v101, v91
	;; [unrolled: 1-line block ×5, first 2 shown]
	v_lshrrev_b32_e32 v175, 1, v97
	v_ashrrev_i32_e32 v179, 1, v94
	v_and_b32_e32 v94, 0xff0000, v81
	v_ashrrev_i32_e32 v176, 1, v91
	v_ashrrev_i32_e32 v172, 1, v95
	v_and_b32_e32 v91, 0xffff0000, v82
	v_and_b32_e32 v82, 0xff00, v82
	;; [unrolled: 1-line block ×3, first 2 shown]
	v_add_nc_u32_e32 v101, v101, v97
	v_add_nc_u32_e32 v105, v105, v97
	v_and_b32_e32 v97, 0xff00, v81
	v_and_b32_e32 v81, 0xff, v81
	v_or3_b32 v82, v82, v91, v92
	v_or3_b32 v91, v195, v95, v94
	v_dual_mov_b32 v56, v2 :: v_dual_add_nc_u32 v203, 0x80, v185
	v_ashrrev_i32_e32 v103, 1, v103
	s_delay_alu instid0(VALU_DEP_4) | instskip(NEXT) | instid1(VALU_DEP_4)
	v_or3_b32 v50, v82, 0, 0
	v_or3_b32 v49, v91, v97, v81
	v_lshl_add_u32 v104, v112, 4, v207
	s_wait_loadcnt 0xc
	ds_store_b128 v96, v[57:60]
	s_wait_loadcnt 0xb
	ds_store_b128 v90, v[61:64] offset:128
	s_wait_loadcnt 0xa
	ds_store_b64 v102, v[83:84] offset:16384
	s_wait_loadcnt 0x9
	ds_store_b64 v100, v[85:86] offset:16384
	ds_store_b64 v103, v[49:50] offset:16384
	v_mov_b32_e32 v62, v2
	v_add3_u32 v98, v98, v203, v187
	v_ashrrev_i32_e32 v177, 1, v99
	v_ashrrev_i32_e32 v104, 1, v104
	;; [unrolled: 1-line block ×4, first 2 shown]
	v_dual_mov_b32 v49, 0 :: v_dual_add_nc_u32 v206, v98, v98
	v_dual_mov_b32 v50, v2 :: v_dual_mov_b32 v57, 0
	v_dual_mov_b32 v58, v2 :: v_dual_mov_b32 v59, v2
	;; [unrolled: 1-line block ×4, first 2 shown]
	s_wait_loadcnt 0x8
	ds_store_b64 v104, v[87:88] offset:16384
.LBB8_12:                               ; =>This Inner Loop Header: Depth=1
	s_wait_dscnt 0x0
	s_barrier_signal -1
	s_barrier_wait -1
	ds_load_b64 v[156:157], v180 offset:16384
	ds_load_b128 v[125:128], v183
	ds_load_b128 v[133:136], v178
	ds_load_b128 v[137:140], v178 offset:4096
	ds_load_b128 v[113:116], v183 offset:4096
	;; [unrolled: 1-line block ×9, first 2 shown]
	ds_load_b128 v[109:112], v181
	ds_load_b128 v[121:124], v183 offset:12288
	ds_load_b128 v[93:96], v182
	ds_load_b128 v[101:104], v181 offset:12288
	ds_load_b128 v[81:84], v182 offset:12288
	s_wait_dscnt 0x10
	;;#ASMSTART
	v_cvt_off_f32_i4 v154, v156
	;;#ASMEND
	v_ashrrev_i32_e32 v153, 16, v156
	;;#ASMSTART
	v_cvt_off_f32_i4 v155, v153
	;;#ASMEND
	v_mov_b32_e32 v153, 0
	v_ashrrev_i32_e32 v158, 24, v156
	v_ashrrev_i32_e32 v159, 24, v157
	s_delay_alu instid0(VALU_DEP_3) | instskip(SKIP_4) | instid1(VALU_DEP_1)
	v_cvt_pk_fp8_f32 v153, v154, v155
	v_ashrrev_i32_e32 v154, 8, v156
	;;#ASMSTART
	v_cvt_off_f32_i4 v155, v154
	;;#ASMEND
	v_mov_b32_e32 v154, 0
	;;#ASMSTART
	v_cvt_off_f32_i4 v158, v158
	;;#ASMEND
	v_cvt_pk_fp8_f32 v154, v155, v158
	v_ashrrev_i32_e32 v155, 4, v156
	;;#ASMSTART
	v_cvt_off_f32_i4 v155, v155
	;;#ASMEND
	v_ashrrev_i32_e32 v158, 20, v156
	;;#ASMSTART
	v_cvt_off_f32_i4 v158, v158
	;;#ASMEND
	s_delay_alu instid0(VALU_DEP_1) | instskip(SKIP_4) | instid1(VALU_DEP_1)
	v_cvt_pk_fp8_f32 v153, v155, v158 op_sel:[0,0,1]
	v_ashrrev_i32_e32 v155, 12, v156
	;;#ASMSTART
	v_cvt_off_f32_i4 v155, v155
	;;#ASMEND
	v_ashrrev_i32_e32 v156, 28, v156
	;;#ASMSTART
	v_cvt_off_f32_i4 v156, v156
	;;#ASMEND
	v_cvt_pk_fp8_f32 v154, v155, v156 op_sel:[0,0,1]
	v_ashrrev_i32_e32 v155, 16, v157
	;;#ASMSTART
	v_cvt_off_f32_i4 v156, v157
	;;#ASMEND
	;;#ASMSTART
	v_cvt_off_f32_i4 v158, v155
	;;#ASMEND
	v_mov_b32_e32 v155, 0
	s_delay_alu instid0(VALU_DEP_1) | instskip(SKIP_4) | instid1(VALU_DEP_1)
	v_cvt_pk_fp8_f32 v155, v156, v158
	v_ashrrev_i32_e32 v156, 8, v157
	;;#ASMSTART
	v_cvt_off_f32_i4 v158, v156
	;;#ASMEND
	v_mov_b32_e32 v156, 0
	;;#ASMSTART
	v_cvt_off_f32_i4 v159, v159
	;;#ASMEND
	v_cvt_pk_fp8_f32 v156, v158, v159
	v_ashrrev_i32_e32 v158, 4, v157
	;;#ASMSTART
	v_cvt_off_f32_i4 v158, v158
	;;#ASMEND
	v_ashrrev_i32_e32 v159, 20, v157
	;;#ASMSTART
	v_cvt_off_f32_i4 v159, v159
	;;#ASMEND
	s_delay_alu instid0(VALU_DEP_1)
	v_cvt_pk_fp8_f32 v155, v158, v159 op_sel:[0,0,1]
	v_ashrrev_i32_e32 v158, 12, v157
	v_ashrrev_i32_e32 v157, 28, v157
	;;#ASMSTART
	v_cvt_off_f32_i4 v158, v158
	;;#ASMEND
	;;#ASMSTART
	v_cvt_off_f32_i4 v157, v157
	;;#ASMEND
	ds_load_b64 v[159:160], v179 offset:16384
	v_cvt_pk_fp8_f32 v156, v158, v157 op_sel:[0,0,1]
	s_wait_dscnt 0x0
	;;#ASMSTART
	v_cvt_off_f32_i4 v158, v159
	;;#ASMEND
	v_ashrrev_i32_e32 v157, 16, v159
	;;#ASMSTART
	v_cvt_off_f32_i4 v161, v157
	;;#ASMEND
	v_mov_b32_e32 v157, 0
	v_ashrrev_i32_e32 v162, 24, v159
	v_ashrrev_i32_e32 v163, 24, v160
	s_delay_alu instid0(VALU_DEP_3) | instskip(SKIP_4) | instid1(VALU_DEP_1)
	v_cvt_pk_fp8_f32 v157, v158, v161
	v_ashrrev_i32_e32 v158, 8, v159
	;;#ASMSTART
	v_cvt_off_f32_i4 v161, v158
	;;#ASMEND
	v_mov_b32_e32 v158, 0
	;;#ASMSTART
	v_cvt_off_f32_i4 v162, v162
	;;#ASMEND
	v_cvt_pk_fp8_f32 v158, v161, v162
	v_ashrrev_i32_e32 v161, 4, v159
	;;#ASMSTART
	v_cvt_off_f32_i4 v161, v161
	;;#ASMEND
	v_ashrrev_i32_e32 v162, 20, v159
	;;#ASMSTART
	v_cvt_off_f32_i4 v162, v162
	;;#ASMEND
	s_delay_alu instid0(VALU_DEP_1) | instskip(SKIP_4) | instid1(VALU_DEP_1)
	v_cvt_pk_fp8_f32 v157, v161, v162 op_sel:[0,0,1]
	v_ashrrev_i32_e32 v161, 12, v159
	;;#ASMSTART
	v_cvt_off_f32_i4 v161, v161
	;;#ASMEND
	v_ashrrev_i32_e32 v159, 28, v159
	;;#ASMSTART
	v_cvt_off_f32_i4 v159, v159
	;;#ASMEND
	v_cvt_pk_fp8_f32 v158, v161, v159 op_sel:[0,0,1]
	v_mov_b32_e32 v161, 0
	v_ashrrev_i32_e32 v159, 16, v160
	;;#ASMSTART
	v_cvt_off_f32_i4 v162, v160
	;;#ASMEND
	;;#ASMSTART
	v_cvt_off_f32_i4 v159, v159
	;;#ASMEND
	s_delay_alu instid0(VALU_DEP_1) | instskip(SKIP_4) | instid1(VALU_DEP_1)
	v_cvt_pk_fp8_f32 v161, v162, v159
	v_mov_b32_e32 v162, 0
	v_ashrrev_i32_e32 v159, 8, v160
	;;#ASMSTART
	v_cvt_off_f32_i4 v159, v159
	;;#ASMEND
	;;#ASMSTART
	v_cvt_off_f32_i4 v163, v163
	;;#ASMEND
	v_cvt_pk_fp8_f32 v162, v159, v163
	v_ashrrev_i32_e32 v159, 4, v160
	;;#ASMSTART
	v_cvt_off_f32_i4 v159, v159
	;;#ASMEND
	v_ashrrev_i32_e32 v163, 20, v160
	;;#ASMSTART
	v_cvt_off_f32_i4 v163, v163
	;;#ASMEND
	s_delay_alu instid0(VALU_DEP_1)
	v_cvt_pk_fp8_f32 v161, v159, v163 op_sel:[0,0,1]
	v_ashrrev_i32_e32 v159, 12, v160
	v_ashrrev_i32_e32 v160, 28, v160
	;;#ASMSTART
	v_cvt_off_f32_i4 v159, v159
	;;#ASMEND
	;;#ASMSTART
	v_cvt_off_f32_i4 v160, v160
	;;#ASMEND
	ds_load_b64 v[164:165], v177 offset:16384
	v_cvt_pk_fp8_f32 v162, v159, v160 op_sel:[0,0,1]
	s_wait_dscnt 0x0
	;;#ASMSTART
	v_cvt_off_f32_i4 v160, v164
	;;#ASMEND
	v_ashrrev_i32_e32 v159, 16, v164
	;;#ASMSTART
	v_cvt_off_f32_i4 v163, v159
	;;#ASMEND
	v_mov_b32_e32 v159, 0
	v_ashrrev_i32_e32 v166, 24, v164
	v_ashrrev_i32_e32 v167, 24, v165
	s_delay_alu instid0(VALU_DEP_3) | instskip(SKIP_4) | instid1(VALU_DEP_1)
	v_cvt_pk_fp8_f32 v159, v160, v163
	v_ashrrev_i32_e32 v160, 8, v164
	;;#ASMSTART
	v_cvt_off_f32_i4 v163, v160
	;;#ASMEND
	v_mov_b32_e32 v160, 0
	;;#ASMSTART
	v_cvt_off_f32_i4 v166, v166
	;;#ASMEND
	v_cvt_pk_fp8_f32 v160, v163, v166
	v_ashrrev_i32_e32 v163, 4, v164
	;;#ASMSTART
	v_cvt_off_f32_i4 v163, v163
	;;#ASMEND
	v_ashrrev_i32_e32 v166, 20, v164
	;;#ASMSTART
	v_cvt_off_f32_i4 v166, v166
	;;#ASMEND
	s_delay_alu instid0(VALU_DEP_1) | instskip(SKIP_4) | instid1(VALU_DEP_1)
	v_cvt_pk_fp8_f32 v159, v163, v166 op_sel:[0,0,1]
	v_ashrrev_i32_e32 v163, 12, v164
	;;#ASMSTART
	v_cvt_off_f32_i4 v163, v163
	;;#ASMEND
	v_ashrrev_i32_e32 v164, 28, v164
	;;#ASMSTART
	v_cvt_off_f32_i4 v164, v164
	;;#ASMEND
	v_cvt_pk_fp8_f32 v160, v163, v164 op_sel:[0,0,1]
	v_ashrrev_i32_e32 v163, 16, v165
	;;#ASMSTART
	v_cvt_off_f32_i4 v164, v165
	;;#ASMEND
	;;#ASMSTART
	v_cvt_off_f32_i4 v166, v163
	;;#ASMEND
	v_mov_b32_e32 v163, 0
	s_delay_alu instid0(VALU_DEP_1) | instskip(SKIP_4) | instid1(VALU_DEP_1)
	v_cvt_pk_fp8_f32 v163, v164, v166
	v_ashrrev_i32_e32 v164, 8, v165
	;;#ASMSTART
	v_cvt_off_f32_i4 v166, v164
	;;#ASMEND
	v_mov_b32_e32 v164, 0
	;;#ASMSTART
	v_cvt_off_f32_i4 v167, v167
	;;#ASMEND
	v_cvt_pk_fp8_f32 v164, v166, v167
	v_ashrrev_i32_e32 v166, 4, v165
	;;#ASMSTART
	v_cvt_off_f32_i4 v166, v166
	;;#ASMEND
	v_ashrrev_i32_e32 v167, 20, v165
	;;#ASMSTART
	v_cvt_off_f32_i4 v167, v167
	;;#ASMEND
	s_delay_alu instid0(VALU_DEP_1)
	v_cvt_pk_fp8_f32 v163, v166, v167 op_sel:[0,0,1]
	v_ashrrev_i32_e32 v166, 12, v165
	v_ashrrev_i32_e32 v165, 28, v165
	;;#ASMSTART
	v_cvt_off_f32_i4 v166, v166
	;;#ASMEND
	;;#ASMSTART
	v_cvt_off_f32_i4 v165, v165
	;;#ASMEND
	ds_load_b64 v[210:211], v176 offset:16384
	v_cvt_pk_fp8_f32 v164, v166, v165 op_sel:[0,0,1]
	s_wait_dscnt 0x0
	;;#ASMSTART
	v_cvt_off_f32_i4 v166, v210
	;;#ASMEND
	v_ashrrev_i32_e32 v165, 16, v210
	;;#ASMSTART
	v_cvt_off_f32_i4 v167, v165
	;;#ASMEND
	v_mov_b32_e32 v165, 0
	v_ashrrev_i32_e32 v168, 24, v210
	v_ashrrev_i32_e32 v212, 24, v211
	s_delay_alu instid0(VALU_DEP_3) | instskip(SKIP_4) | instid1(VALU_DEP_1)
	v_cvt_pk_fp8_f32 v165, v166, v167
	v_ashrrev_i32_e32 v166, 8, v210
	;;#ASMSTART
	v_cvt_off_f32_i4 v167, v166
	;;#ASMEND
	v_mov_b32_e32 v166, 0
	;;#ASMSTART
	v_cvt_off_f32_i4 v168, v168
	;;#ASMEND
	v_cvt_pk_fp8_f32 v166, v167, v168
	v_ashrrev_i32_e32 v167, 4, v210
	;;#ASMSTART
	v_cvt_off_f32_i4 v167, v167
	;;#ASMEND
	v_ashrrev_i32_e32 v168, 20, v210
	;;#ASMSTART
	v_cvt_off_f32_i4 v168, v168
	;;#ASMEND
	s_delay_alu instid0(VALU_DEP_1) | instskip(SKIP_4) | instid1(VALU_DEP_1)
	v_cvt_pk_fp8_f32 v165, v167, v168 op_sel:[0,0,1]
	v_ashrrev_i32_e32 v167, 12, v210
	;;#ASMSTART
	v_cvt_off_f32_i4 v167, v167
	;;#ASMEND
	v_ashrrev_i32_e32 v168, 28, v210
	;;#ASMSTART
	v_cvt_off_f32_i4 v168, v168
	;;#ASMEND
	v_cvt_pk_fp8_f32 v166, v167, v168 op_sel:[0,0,1]
	v_ashrrev_i32_e32 v167, 16, v211
	;;#ASMSTART
	v_cvt_off_f32_i4 v168, v211
	;;#ASMEND
	;;#ASMSTART
	v_cvt_off_f32_i4 v210, v167
	;;#ASMEND
	v_mov_b32_e32 v167, 0
	s_delay_alu instid0(VALU_DEP_1) | instskip(SKIP_4) | instid1(VALU_DEP_1)
	v_cvt_pk_fp8_f32 v167, v168, v210
	v_ashrrev_i32_e32 v168, 8, v211
	;;#ASMSTART
	v_cvt_off_f32_i4 v210, v168
	;;#ASMEND
	v_mov_b32_e32 v168, 0
	;;#ASMSTART
	v_cvt_off_f32_i4 v212, v212
	;;#ASMEND
	v_cvt_pk_fp8_f32 v168, v210, v212
	v_ashrrev_i32_e32 v210, 4, v211
	;;#ASMSTART
	v_cvt_off_f32_i4 v210, v210
	;;#ASMEND
	v_ashrrev_i32_e32 v212, 20, v211
	;;#ASMSTART
	v_cvt_off_f32_i4 v212, v212
	;;#ASMEND
	s_delay_alu instid0(VALU_DEP_1) | instskip(SKIP_4) | instid1(VALU_DEP_1)
	v_cvt_pk_fp8_f32 v167, v210, v212 op_sel:[0,0,1]
	v_ashrrev_i32_e32 v210, 12, v211
	v_ashrrev_i32_e32 v211, 28, v211
	;;#ASMSTART
	v_cvt_off_f32_i4 v210, v210
	;;#ASMEND
	;;#ASMSTART
	v_cvt_off_f32_i4 v211, v211
	;;#ASMEND
	v_cvt_pk_fp8_f32 v168, v210, v211 op_sel:[0,0,1]
	ds_load_b64 v[210:211], v175 offset:16384
	s_wait_dscnt 0x0
	;;#ASMSTART
	v_cvt_off_f32_i4 v213, v210
	;;#ASMEND
	v_ashrrev_i32_e32 v212, 16, v210
	;;#ASMSTART
	v_cvt_off_f32_i4 v214, v212
	;;#ASMEND
	v_mov_b32_e32 v212, 0
	v_ashrrev_i32_e32 v215, 24, v210
	v_ashrrev_i32_e32 v216, 24, v211
	s_delay_alu instid0(VALU_DEP_3) | instskip(SKIP_4) | instid1(VALU_DEP_1)
	v_cvt_pk_fp8_f32 v212, v213, v214
	v_ashrrev_i32_e32 v213, 8, v210
	;;#ASMSTART
	v_cvt_off_f32_i4 v214, v213
	;;#ASMEND
	v_mov_b32_e32 v213, 0
	;;#ASMSTART
	v_cvt_off_f32_i4 v215, v215
	;;#ASMEND
	v_cvt_pk_fp8_f32 v213, v214, v215
	v_ashrrev_i32_e32 v214, 4, v210
	;;#ASMSTART
	v_cvt_off_f32_i4 v214, v214
	;;#ASMEND
	v_ashrrev_i32_e32 v215, 20, v210
	;;#ASMSTART
	v_cvt_off_f32_i4 v215, v215
	;;#ASMEND
	s_delay_alu instid0(VALU_DEP_1) | instskip(SKIP_4) | instid1(VALU_DEP_1)
	v_cvt_pk_fp8_f32 v212, v214, v215 op_sel:[0,0,1]
	v_ashrrev_i32_e32 v214, 12, v210
	;;#ASMSTART
	v_cvt_off_f32_i4 v214, v214
	;;#ASMEND
	v_ashrrev_i32_e32 v210, 28, v210
	;;#ASMSTART
	v_cvt_off_f32_i4 v210, v210
	;;#ASMEND
	v_cvt_pk_fp8_f32 v213, v214, v210 op_sel:[0,0,1]
	v_mov_b32_e32 v214, 0
	v_ashrrev_i32_e32 v210, 16, v211
	;;#ASMSTART
	v_cvt_off_f32_i4 v215, v211
	;;#ASMEND
	;;#ASMSTART
	v_cvt_off_f32_i4 v210, v210
	;;#ASMEND
	s_delay_alu instid0(VALU_DEP_1) | instskip(SKIP_4) | instid1(VALU_DEP_1)
	v_cvt_pk_fp8_f32 v214, v215, v210
	v_mov_b32_e32 v215, 0
	v_ashrrev_i32_e32 v210, 8, v211
	;;#ASMSTART
	v_cvt_off_f32_i4 v210, v210
	;;#ASMEND
	;;#ASMSTART
	v_cvt_off_f32_i4 v216, v216
	;;#ASMEND
	v_cvt_pk_fp8_f32 v215, v210, v216
	v_ashrrev_i32_e32 v210, 4, v211
	;;#ASMSTART
	v_cvt_off_f32_i4 v210, v210
	;;#ASMEND
	v_ashrrev_i32_e32 v216, 20, v211
	;;#ASMSTART
	v_cvt_off_f32_i4 v216, v216
	;;#ASMEND
	s_delay_alu instid0(VALU_DEP_1) | instskip(SKIP_4) | instid1(VALU_DEP_1)
	v_cvt_pk_fp8_f32 v214, v210, v216 op_sel:[0,0,1]
	v_ashrrev_i32_e32 v210, 12, v211
	v_ashrrev_i32_e32 v211, 28, v211
	;;#ASMSTART
	v_cvt_off_f32_i4 v210, v210
	;;#ASMEND
	;;#ASMSTART
	v_cvt_off_f32_i4 v211, v211
	;;#ASMEND
	v_cvt_pk_fp8_f32 v215, v210, v211 op_sel:[0,0,1]
	ds_load_b64 v[210:211], v174 offset:16384
	s_wait_dscnt 0x0
	;;#ASMSTART
	v_cvt_off_f32_i4 v217, v210
	;;#ASMEND
	v_ashrrev_i32_e32 v216, 16, v210
	;;#ASMSTART
	v_cvt_off_f32_i4 v218, v216
	;;#ASMEND
	v_mov_b32_e32 v216, 0
	v_ashrrev_i32_e32 v219, 24, v210
	v_ashrrev_i32_e32 v220, 24, v211
	s_delay_alu instid0(VALU_DEP_3) | instskip(SKIP_4) | instid1(VALU_DEP_1)
	v_cvt_pk_fp8_f32 v216, v217, v218
	v_ashrrev_i32_e32 v217, 8, v210
	;;#ASMSTART
	v_cvt_off_f32_i4 v218, v217
	;;#ASMEND
	v_mov_b32_e32 v217, 0
	;;#ASMSTART
	v_cvt_off_f32_i4 v219, v219
	;;#ASMEND
	v_cvt_pk_fp8_f32 v217, v218, v219
	v_ashrrev_i32_e32 v218, 4, v210
	;;#ASMSTART
	v_cvt_off_f32_i4 v218, v218
	;;#ASMEND
	v_ashrrev_i32_e32 v219, 20, v210
	;;#ASMSTART
	v_cvt_off_f32_i4 v219, v219
	;;#ASMEND
	s_delay_alu instid0(VALU_DEP_1) | instskip(SKIP_4) | instid1(VALU_DEP_1)
	v_cvt_pk_fp8_f32 v216, v218, v219 op_sel:[0,0,1]
	v_ashrrev_i32_e32 v218, 12, v210
	;;#ASMSTART
	v_cvt_off_f32_i4 v218, v218
	;;#ASMEND
	v_ashrrev_i32_e32 v210, 28, v210
	;;#ASMSTART
	v_cvt_off_f32_i4 v210, v210
	;;#ASMEND
	v_cvt_pk_fp8_f32 v217, v218, v210 op_sel:[0,0,1]
	v_mov_b32_e32 v218, 0
	v_ashrrev_i32_e32 v210, 16, v211
	;;#ASMSTART
	v_cvt_off_f32_i4 v219, v211
	;;#ASMEND
	;;#ASMSTART
	v_cvt_off_f32_i4 v210, v210
	;;#ASMEND
	s_delay_alu instid0(VALU_DEP_1) | instskip(SKIP_4) | instid1(VALU_DEP_1)
	v_cvt_pk_fp8_f32 v218, v219, v210
	v_mov_b32_e32 v219, 0
	v_ashrrev_i32_e32 v210, 8, v211
	;;#ASMSTART
	v_cvt_off_f32_i4 v210, v210
	;;#ASMEND
	;;#ASMSTART
	v_cvt_off_f32_i4 v220, v220
	;;#ASMEND
	v_cvt_pk_fp8_f32 v219, v210, v220
	v_ashrrev_i32_e32 v210, 4, v211
	;;#ASMSTART
	v_cvt_off_f32_i4 v210, v210
	;;#ASMEND
	v_ashrrev_i32_e32 v220, 20, v211
	;;#ASMSTART
	v_cvt_off_f32_i4 v220, v220
	;;#ASMEND
	s_delay_alu instid0(VALU_DEP_1) | instskip(SKIP_4) | instid1(VALU_DEP_1)
	v_cvt_pk_fp8_f32 v218, v210, v220 op_sel:[0,0,1]
	v_ashrrev_i32_e32 v210, 12, v211
	v_ashrrev_i32_e32 v211, 28, v211
	;;#ASMSTART
	v_cvt_off_f32_i4 v210, v210
	;;#ASMEND
	;;#ASMSTART
	v_cvt_off_f32_i4 v211, v211
	;;#ASMEND
	v_cvt_pk_fp8_f32 v219, v210, v211 op_sel:[0,0,1]
	ds_load_b64 v[210:211], v173 offset:16384
	s_wait_dscnt 0x0
	;;#ASMSTART
	v_cvt_off_f32_i4 v221, v210
	;;#ASMEND
	v_ashrrev_i32_e32 v220, 16, v210
	;;#ASMSTART
	v_cvt_off_f32_i4 v222, v220
	;;#ASMEND
	v_mov_b32_e32 v220, 0
	v_ashrrev_i32_e32 v223, 24, v210
	v_ashrrev_i32_e32 v224, 24, v211
	s_delay_alu instid0(VALU_DEP_3) | instskip(SKIP_4) | instid1(VALU_DEP_1)
	v_cvt_pk_fp8_f32 v220, v221, v222
	v_ashrrev_i32_e32 v221, 8, v210
	;;#ASMSTART
	v_cvt_off_f32_i4 v222, v221
	;;#ASMEND
	v_mov_b32_e32 v221, 0
	;;#ASMSTART
	v_cvt_off_f32_i4 v223, v223
	;;#ASMEND
	v_cvt_pk_fp8_f32 v221, v222, v223
	v_ashrrev_i32_e32 v222, 4, v210
	;;#ASMSTART
	v_cvt_off_f32_i4 v222, v222
	;;#ASMEND
	v_ashrrev_i32_e32 v223, 20, v210
	;;#ASMSTART
	v_cvt_off_f32_i4 v223, v223
	;;#ASMEND
	s_delay_alu instid0(VALU_DEP_1) | instskip(SKIP_4) | instid1(VALU_DEP_1)
	v_cvt_pk_fp8_f32 v220, v222, v223 op_sel:[0,0,1]
	v_ashrrev_i32_e32 v222, 12, v210
	;;#ASMSTART
	v_cvt_off_f32_i4 v222, v222
	;;#ASMEND
	v_ashrrev_i32_e32 v210, 28, v210
	;;#ASMSTART
	v_cvt_off_f32_i4 v210, v210
	;;#ASMEND
	v_cvt_pk_fp8_f32 v221, v222, v210 op_sel:[0,0,1]
	v_mov_b32_e32 v222, 0
	v_ashrrev_i32_e32 v210, 16, v211
	;;#ASMSTART
	v_cvt_off_f32_i4 v223, v211
	;;#ASMEND
	;;#ASMSTART
	v_cvt_off_f32_i4 v210, v210
	;;#ASMEND
	s_delay_alu instid0(VALU_DEP_1) | instskip(SKIP_4) | instid1(VALU_DEP_1)
	v_cvt_pk_fp8_f32 v222, v223, v210
	v_mov_b32_e32 v223, 0
	v_ashrrev_i32_e32 v210, 8, v211
	;;#ASMSTART
	v_cvt_off_f32_i4 v210, v210
	;;#ASMEND
	;;#ASMSTART
	v_cvt_off_f32_i4 v224, v224
	;;#ASMEND
	v_cvt_pk_fp8_f32 v223, v210, v224
	v_ashrrev_i32_e32 v210, 4, v211
	;;#ASMSTART
	v_cvt_off_f32_i4 v210, v210
	;;#ASMEND
	v_ashrrev_i32_e32 v224, 20, v211
	;;#ASMSTART
	v_cvt_off_f32_i4 v224, v224
	;;#ASMEND
	s_delay_alu instid0(VALU_DEP_1) | instskip(SKIP_4) | instid1(VALU_DEP_1)
	v_cvt_pk_fp8_f32 v222, v210, v224 op_sel:[0,0,1]
	v_ashrrev_i32_e32 v210, 12, v211
	v_ashrrev_i32_e32 v211, 28, v211
	;;#ASMSTART
	v_cvt_off_f32_i4 v210, v210
	;;#ASMEND
	;;#ASMSTART
	v_cvt_off_f32_i4 v211, v211
	;;#ASMEND
	v_cvt_pk_fp8_f32 v223, v210, v211 op_sel:[0,0,1]
	ds_load_b64 v[210:211], v172 offset:16384
	s_wait_dscnt 0x0
	;;#ASMSTART
	v_cvt_off_f32_i4 v225, v210
	;;#ASMEND
	v_ashrrev_i32_e32 v224, 16, v210
	;;#ASMSTART
	v_cvt_off_f32_i4 v226, v224
	;;#ASMEND
	v_mov_b32_e32 v224, 0
	v_ashrrev_i32_e32 v227, 24, v210
	v_ashrrev_i32_e32 v228, 24, v211
	s_delay_alu instid0(VALU_DEP_3) | instskip(SKIP_4) | instid1(VALU_DEP_1)
	v_cvt_pk_fp8_f32 v224, v225, v226
	v_ashrrev_i32_e32 v225, 8, v210
	;;#ASMSTART
	v_cvt_off_f32_i4 v226, v225
	;;#ASMEND
	v_mov_b32_e32 v225, 0
	;;#ASMSTART
	v_cvt_off_f32_i4 v227, v227
	;;#ASMEND
	v_cvt_pk_fp8_f32 v225, v226, v227
	v_ashrrev_i32_e32 v226, 4, v210
	;;#ASMSTART
	v_cvt_off_f32_i4 v226, v226
	;;#ASMEND
	v_ashrrev_i32_e32 v227, 20, v210
	;;#ASMSTART
	v_cvt_off_f32_i4 v227, v227
	;;#ASMEND
	s_delay_alu instid0(VALU_DEP_1) | instskip(SKIP_4) | instid1(VALU_DEP_1)
	v_cvt_pk_fp8_f32 v224, v226, v227 op_sel:[0,0,1]
	v_ashrrev_i32_e32 v226, 12, v210
	;;#ASMSTART
	v_cvt_off_f32_i4 v226, v226
	;;#ASMEND
	v_ashrrev_i32_e32 v210, 28, v210
	;;#ASMSTART
	v_cvt_off_f32_i4 v210, v210
	;;#ASMEND
	v_cvt_pk_fp8_f32 v225, v226, v210 op_sel:[0,0,1]
	v_mov_b32_e32 v226, 0
	v_ashrrev_i32_e32 v210, 16, v211
	;;#ASMSTART
	v_cvt_off_f32_i4 v227, v211
	;;#ASMEND
	;;#ASMSTART
	v_cvt_off_f32_i4 v210, v210
	;;#ASMEND
	s_delay_alu instid0(VALU_DEP_1) | instskip(SKIP_4) | instid1(VALU_DEP_1)
	v_cvt_pk_fp8_f32 v226, v227, v210
	v_mov_b32_e32 v227, 0
	v_ashrrev_i32_e32 v210, 8, v211
	;;#ASMSTART
	v_cvt_off_f32_i4 v210, v210
	;;#ASMEND
	;;#ASMSTART
	v_cvt_off_f32_i4 v228, v228
	;;#ASMEND
	v_cvt_pk_fp8_f32 v227, v210, v228
	v_ashrrev_i32_e32 v210, 4, v211
	;;#ASMSTART
	v_cvt_off_f32_i4 v210, v210
	;;#ASMEND
	v_ashrrev_i32_e32 v228, 20, v211
	;;#ASMSTART
	v_cvt_off_f32_i4 v228, v228
	;;#ASMEND
	s_delay_alu instid0(VALU_DEP_1) | instskip(SKIP_4) | instid1(VALU_DEP_1)
	v_cvt_pk_fp8_f32 v226, v210, v228 op_sel:[0,0,1]
	v_ashrrev_i32_e32 v210, 12, v211
	v_ashrrev_i32_e32 v211, 28, v211
	;;#ASMSTART
	v_cvt_off_f32_i4 v210, v210
	;;#ASMEND
	;;#ASMSTART
	v_cvt_off_f32_i4 v211, v211
	;;#ASMEND
	v_cvt_pk_fp8_f32 v227, v210, v211 op_sel:[0,0,1]
	v_add_nc_u32_e32 v210, v193, v191
	; sched_barrier mask(0x00000000)
	s_barrier_signal -1
	s_barrier_wait -1
	; sched_barrier mask(0x00000000)
	v_wmma_f32_16x16x16_fp8_fp8 v[57:64], v[153:154], v[133:134], v[57:64]
	s_delay_alu instid0(VALU_DEP_1)
	v_wmma_f32_16x16x16_fp8_fp8 v[57:64], v[155:156], v[135:136], v[57:64]
	; sched_barrier mask(0x00000000)
	s_setprio 1
	; sched_barrier mask(0x00000000)
	v_wmma_f32_16x16x16_fp8_fp8 v[49:56], v[212:213], v[133:134], v[49:56]
	v_wmma_f32_16x16x16_fp8_fp8 v[33:40], v[153:154], v[137:138], v[33:40]
	;; [unrolled: 1-line block ×60, first 2 shown]
	; sched_barrier mask(0x00000000)
	s_wait_dscnt 0x0
	s_barrier_signal -1
	s_barrier_wait -1
	; sched_barrier mask(0x00000000)
	v_wmma_f32_16x16x16_fp8_fp8 v[1:8], v[224:225], v[81:82], v[1:8]
	s_delay_alu instid0(VALU_DEP_1)
	v_wmma_f32_16x16x16_fp8_fp8 v[1:8], v[226:227], v[83:84], v[1:8]
	; sched_barrier mask(0x00000000)
	s_setprio 0
	; sched_barrier mask(0x00000000)
	s_wait_loadcnt 0x7
	ds_store_b128 v205, v[77:80]
	v_add_nc_u32_e32 v77, v205, v186
	s_wait_alu 0xfffe
	v_add_nc_u32_e64 v213, 2, s7
	v_add_nc_u32_e32 v212, v193, v198
	s_wait_loadcnt 0x6
	ds_store_b128 v77, v[73:76] offset:128
	v_add_nc_u32_e32 v73, v77, v202
	s_delay_alu instid0(VALU_DEP_1)
	v_add_nc_u32_e32 v211, v73, v203
	s_wait_loadcnt 0x5
	ds_store_b128 v73, v[69:72] offset:128
	s_wait_loadcnt 0x4
	ds_store_b128 v211, v[65:68] offset:128
	v_lshrrev_b32_e32 v65, 31, v207
	s_delay_alu instid0(VALU_DEP_1) | instskip(NEXT) | instid1(VALU_DEP_1)
	v_add_nc_u32_e32 v65, v207, v65
	v_ashrrev_i32_e32 v65, 1, v65
	s_wait_loadcnt 0x3
	ds_store_b64 v65, v[145:146] offset:16384
	v_add_nc_u32_e32 v65, v207, v188
	s_delay_alu instid0(VALU_DEP_1) | instskip(NEXT) | instid1(VALU_DEP_1)
	v_lshrrev_b32_e32 v66, 31, v65
	v_add_nc_u32_e32 v66, v65, v66
	v_add_nc_u32_e32 v65, v65, v190
	s_delay_alu instid0(VALU_DEP_2) | instskip(NEXT) | instid1(VALU_DEP_2)
	v_ashrrev_i32_e32 v66, 1, v66
	v_add_nc_u32_e32 v207, v65, v189
	s_wait_loadcnt 0x0
	ds_store_b64 v66, v[151:152] offset:16384
	v_lshrrev_b32_e32 v66, 31, v65
	s_delay_alu instid0(VALU_DEP_1) | instskip(SKIP_1) | instid1(VALU_DEP_2)
	v_add_nc_u32_e32 v66, v65, v66
	v_lshrrev_b32_e32 v65, 31, v207
	v_ashrrev_i32_e32 v66, 1, v66
	s_delay_alu instid0(VALU_DEP_2)
	v_add_nc_u32_e32 v65, v207, v65
	ds_store_b64 v66, v[149:150] offset:16384
	v_ashrrev_i32_e32 v65, 1, v65
	v_sub_nc_u32_e32 v66, v197, v194
	ds_store_b64 v65, v[147:148] offset:16384
	v_sub_nc_u32_e32 v65, v213, v208
	v_sub_nc_u32_e32 v67, v66, v192
	;; [unrolled: 1-line block ×3, first 2 shown]
	v_add_nc_u32_e32 v208, v193, v200
	s_delay_alu instid0(VALU_DEP_4) | instskip(NEXT) | instid1(VALU_DEP_4)
	v_mul_lo_u32 v65, v65, s12
	v_lshlrev_b32_e32 v67, 4, v67
	s_delay_alu instid0(VALU_DEP_1) | instskip(SKIP_1) | instid1(VALU_DEP_2)
	v_add3_u32 v65, v65, v209, v67
	v_lshrrev_b32_e32 v67, 31, v209
	v_lshrrev_b32_e32 v68, 31, v65
	s_delay_alu instid0(VALU_DEP_2) | instskip(SKIP_1) | instid1(VALU_DEP_3)
	v_add_nc_u32_e32 v67, v209, v67
	v_add_nc_u32_e32 v209, v193, v199
	;; [unrolled: 1-line block ×4, first 2 shown]
	s_delay_alu instid0(VALU_DEP_4) | instskip(NEXT) | instid1(VALU_DEP_3)
	v_ashrrev_i32_e32 v67, 1, v67
	v_ashrrev_i32_e32 v68, 1, v68
	s_delay_alu instid0(VALU_DEP_3) | instskip(SKIP_1) | instid1(VALU_DEP_1)
	v_lshl_add_u32 v214, v66, 4, v65
	v_lshrrev_b32_e32 v66, 31, v65
	v_add_nc_u32_e32 v65, v65, v66
	s_delay_alu instid0(VALU_DEP_3) | instskip(NEXT) | instid1(VALU_DEP_2)
	v_lshrrev_b32_e32 v66, 31, v214
	v_ashrrev_i32_e32 v65, 1, v65
	s_delay_alu instid0(VALU_DEP_2) | instskip(NEXT) | instid1(VALU_DEP_1)
	v_add_nc_u32_e32 v66, v214, v66
	v_ashrrev_i32_e32 v66, 1, v66
	s_clause 0x3
	buffer_load_b64 v[149:150], v67, s[8:11], null offen
	buffer_load_b64 v[145:146], v68, s[8:11], null offen
	;; [unrolled: 1-line block ×4, first 2 shown]
	s_clause 0x3
	buffer_load_b128 v[77:80], v210, s[0:3], null offen offset:256
	buffer_load_b128 v[73:76], v208, s[0:3], null offen offset:256
	;; [unrolled: 1-line block ×4, first 2 shown]
	s_wait_dscnt 0x0
	s_barrier_signal -1
	s_barrier_wait -1
	ds_load_b64 v[156:157], v180 offset:16384
	ds_load_b128 v[125:128], v183
	ds_load_b128 v[133:136], v178
	ds_load_b128 v[137:140], v178 offset:4096
	ds_load_b128 v[113:116], v183 offset:4096
	ds_load_b128 v[117:120], v183 offset:8192
	ds_load_b128 v[105:108], v181 offset:4096
	ds_load_b128 v[97:100], v181 offset:8192
	ds_load_b128 v[89:92], v182 offset:4096
	ds_load_b128 v[85:88], v182 offset:8192
	ds_load_b128 v[141:144], v178 offset:8192
	ds_load_b128 v[129:132], v178 offset:12288
	ds_load_b128 v[109:112], v181
	ds_load_b128 v[121:124], v183 offset:12288
	ds_load_b128 v[93:96], v182
	ds_load_b128 v[101:104], v181 offset:12288
	ds_load_b128 v[81:84], v182 offset:12288
	s_wait_dscnt 0x10
	;;#ASMSTART
	v_cvt_off_f32_i4 v154, v156
	;;#ASMEND
	v_ashrrev_i32_e32 v153, 16, v156
	;;#ASMSTART
	v_cvt_off_f32_i4 v155, v153
	;;#ASMEND
	v_mov_b32_e32 v153, 0
	v_ashrrev_i32_e32 v158, 24, v156
	v_ashrrev_i32_e32 v159, 24, v157
	s_delay_alu instid0(VALU_DEP_3) | instskip(SKIP_4) | instid1(VALU_DEP_1)
	v_cvt_pk_fp8_f32 v153, v154, v155
	v_ashrrev_i32_e32 v154, 8, v156
	;;#ASMSTART
	v_cvt_off_f32_i4 v155, v154
	;;#ASMEND
	v_mov_b32_e32 v154, 0
	;;#ASMSTART
	v_cvt_off_f32_i4 v158, v158
	;;#ASMEND
	v_cvt_pk_fp8_f32 v154, v155, v158
	v_ashrrev_i32_e32 v155, 4, v156
	;;#ASMSTART
	v_cvt_off_f32_i4 v155, v155
	;;#ASMEND
	v_ashrrev_i32_e32 v158, 20, v156
	;;#ASMSTART
	v_cvt_off_f32_i4 v158, v158
	;;#ASMEND
	s_delay_alu instid0(VALU_DEP_1) | instskip(SKIP_4) | instid1(VALU_DEP_1)
	v_cvt_pk_fp8_f32 v153, v155, v158 op_sel:[0,0,1]
	v_ashrrev_i32_e32 v155, 12, v156
	;;#ASMSTART
	v_cvt_off_f32_i4 v155, v155
	;;#ASMEND
	v_ashrrev_i32_e32 v156, 28, v156
	;;#ASMSTART
	v_cvt_off_f32_i4 v156, v156
	;;#ASMEND
	v_cvt_pk_fp8_f32 v154, v155, v156 op_sel:[0,0,1]
	v_ashrrev_i32_e32 v155, 16, v157
	;;#ASMSTART
	v_cvt_off_f32_i4 v156, v157
	;;#ASMEND
	;;#ASMSTART
	v_cvt_off_f32_i4 v158, v155
	;;#ASMEND
	v_mov_b32_e32 v155, 0
	s_delay_alu instid0(VALU_DEP_1) | instskip(SKIP_4) | instid1(VALU_DEP_1)
	v_cvt_pk_fp8_f32 v155, v156, v158
	v_ashrrev_i32_e32 v156, 8, v157
	;;#ASMSTART
	v_cvt_off_f32_i4 v158, v156
	;;#ASMEND
	v_mov_b32_e32 v156, 0
	;;#ASMSTART
	v_cvt_off_f32_i4 v159, v159
	;;#ASMEND
	v_cvt_pk_fp8_f32 v156, v158, v159
	v_ashrrev_i32_e32 v158, 4, v157
	;;#ASMSTART
	v_cvt_off_f32_i4 v158, v158
	;;#ASMEND
	v_ashrrev_i32_e32 v159, 20, v157
	;;#ASMSTART
	v_cvt_off_f32_i4 v159, v159
	;;#ASMEND
	s_delay_alu instid0(VALU_DEP_1)
	v_cvt_pk_fp8_f32 v155, v158, v159 op_sel:[0,0,1]
	v_ashrrev_i32_e32 v158, 12, v157
	v_ashrrev_i32_e32 v157, 28, v157
	;;#ASMSTART
	v_cvt_off_f32_i4 v158, v158
	;;#ASMEND
	;;#ASMSTART
	v_cvt_off_f32_i4 v157, v157
	;;#ASMEND
	ds_load_b64 v[159:160], v179 offset:16384
	v_cvt_pk_fp8_f32 v156, v158, v157 op_sel:[0,0,1]
	s_wait_dscnt 0x0
	;;#ASMSTART
	v_cvt_off_f32_i4 v158, v159
	;;#ASMEND
	v_ashrrev_i32_e32 v157, 16, v159
	;;#ASMSTART
	v_cvt_off_f32_i4 v161, v157
	;;#ASMEND
	v_mov_b32_e32 v157, 0
	v_ashrrev_i32_e32 v162, 24, v159
	v_ashrrev_i32_e32 v163, 24, v160
	s_delay_alu instid0(VALU_DEP_3) | instskip(SKIP_4) | instid1(VALU_DEP_1)
	v_cvt_pk_fp8_f32 v157, v158, v161
	v_ashrrev_i32_e32 v158, 8, v159
	;;#ASMSTART
	v_cvt_off_f32_i4 v161, v158
	;;#ASMEND
	v_mov_b32_e32 v158, 0
	;;#ASMSTART
	v_cvt_off_f32_i4 v162, v162
	;;#ASMEND
	v_cvt_pk_fp8_f32 v158, v161, v162
	v_ashrrev_i32_e32 v161, 4, v159
	;;#ASMSTART
	v_cvt_off_f32_i4 v161, v161
	;;#ASMEND
	v_ashrrev_i32_e32 v162, 20, v159
	;;#ASMSTART
	v_cvt_off_f32_i4 v162, v162
	;;#ASMEND
	s_delay_alu instid0(VALU_DEP_1) | instskip(SKIP_4) | instid1(VALU_DEP_1)
	v_cvt_pk_fp8_f32 v157, v161, v162 op_sel:[0,0,1]
	v_ashrrev_i32_e32 v161, 12, v159
	;;#ASMSTART
	v_cvt_off_f32_i4 v161, v161
	;;#ASMEND
	v_ashrrev_i32_e32 v159, 28, v159
	;;#ASMSTART
	v_cvt_off_f32_i4 v159, v159
	;;#ASMEND
	v_cvt_pk_fp8_f32 v158, v161, v159 op_sel:[0,0,1]
	v_mov_b32_e32 v161, 0
	v_ashrrev_i32_e32 v159, 16, v160
	;;#ASMSTART
	v_cvt_off_f32_i4 v162, v160
	;;#ASMEND
	;;#ASMSTART
	v_cvt_off_f32_i4 v159, v159
	;;#ASMEND
	s_delay_alu instid0(VALU_DEP_1) | instskip(SKIP_4) | instid1(VALU_DEP_1)
	v_cvt_pk_fp8_f32 v161, v162, v159
	v_mov_b32_e32 v162, 0
	v_ashrrev_i32_e32 v159, 8, v160
	;;#ASMSTART
	v_cvt_off_f32_i4 v159, v159
	;;#ASMEND
	;;#ASMSTART
	v_cvt_off_f32_i4 v163, v163
	;;#ASMEND
	v_cvt_pk_fp8_f32 v162, v159, v163
	v_ashrrev_i32_e32 v159, 4, v160
	;;#ASMSTART
	v_cvt_off_f32_i4 v159, v159
	;;#ASMEND
	v_ashrrev_i32_e32 v163, 20, v160
	;;#ASMSTART
	v_cvt_off_f32_i4 v163, v163
	;;#ASMEND
	s_delay_alu instid0(VALU_DEP_1)
	v_cvt_pk_fp8_f32 v161, v159, v163 op_sel:[0,0,1]
	v_ashrrev_i32_e32 v159, 12, v160
	v_ashrrev_i32_e32 v160, 28, v160
	;;#ASMSTART
	v_cvt_off_f32_i4 v159, v159
	;;#ASMEND
	;;#ASMSTART
	v_cvt_off_f32_i4 v160, v160
	;;#ASMEND
	ds_load_b64 v[164:165], v177 offset:16384
	v_cvt_pk_fp8_f32 v162, v159, v160 op_sel:[0,0,1]
	s_wait_dscnt 0x0
	;;#ASMSTART
	v_cvt_off_f32_i4 v160, v164
	;;#ASMEND
	v_ashrrev_i32_e32 v159, 16, v164
	;;#ASMSTART
	v_cvt_off_f32_i4 v163, v159
	;;#ASMEND
	v_mov_b32_e32 v159, 0
	v_ashrrev_i32_e32 v166, 24, v164
	v_ashrrev_i32_e32 v167, 24, v165
	s_delay_alu instid0(VALU_DEP_3) | instskip(SKIP_4) | instid1(VALU_DEP_1)
	v_cvt_pk_fp8_f32 v159, v160, v163
	v_ashrrev_i32_e32 v160, 8, v164
	;;#ASMSTART
	v_cvt_off_f32_i4 v163, v160
	;;#ASMEND
	v_mov_b32_e32 v160, 0
	;;#ASMSTART
	v_cvt_off_f32_i4 v166, v166
	;;#ASMEND
	v_cvt_pk_fp8_f32 v160, v163, v166
	v_ashrrev_i32_e32 v163, 4, v164
	;;#ASMSTART
	v_cvt_off_f32_i4 v163, v163
	;;#ASMEND
	v_ashrrev_i32_e32 v166, 20, v164
	;;#ASMSTART
	v_cvt_off_f32_i4 v166, v166
	;;#ASMEND
	s_delay_alu instid0(VALU_DEP_1) | instskip(SKIP_4) | instid1(VALU_DEP_1)
	v_cvt_pk_fp8_f32 v159, v163, v166 op_sel:[0,0,1]
	v_ashrrev_i32_e32 v163, 12, v164
	;;#ASMSTART
	v_cvt_off_f32_i4 v163, v163
	;;#ASMEND
	v_ashrrev_i32_e32 v164, 28, v164
	;;#ASMSTART
	v_cvt_off_f32_i4 v164, v164
	;;#ASMEND
	v_cvt_pk_fp8_f32 v160, v163, v164 op_sel:[0,0,1]
	v_ashrrev_i32_e32 v163, 16, v165
	;;#ASMSTART
	v_cvt_off_f32_i4 v164, v165
	;;#ASMEND
	;;#ASMSTART
	v_cvt_off_f32_i4 v166, v163
	;;#ASMEND
	v_mov_b32_e32 v163, 0
	s_delay_alu instid0(VALU_DEP_1) | instskip(SKIP_4) | instid1(VALU_DEP_1)
	v_cvt_pk_fp8_f32 v163, v164, v166
	v_ashrrev_i32_e32 v164, 8, v165
	;;#ASMSTART
	v_cvt_off_f32_i4 v166, v164
	;;#ASMEND
	v_mov_b32_e32 v164, 0
	;;#ASMSTART
	v_cvt_off_f32_i4 v167, v167
	;;#ASMEND
	v_cvt_pk_fp8_f32 v164, v166, v167
	v_ashrrev_i32_e32 v166, 4, v165
	;;#ASMSTART
	v_cvt_off_f32_i4 v166, v166
	;;#ASMEND
	v_ashrrev_i32_e32 v167, 20, v165
	;;#ASMSTART
	v_cvt_off_f32_i4 v167, v167
	;;#ASMEND
	s_delay_alu instid0(VALU_DEP_1)
	v_cvt_pk_fp8_f32 v163, v166, v167 op_sel:[0,0,1]
	v_ashrrev_i32_e32 v166, 12, v165
	v_ashrrev_i32_e32 v165, 28, v165
	;;#ASMSTART
	v_cvt_off_f32_i4 v166, v166
	;;#ASMEND
	;;#ASMSTART
	v_cvt_off_f32_i4 v165, v165
	;;#ASMEND
	ds_load_b64 v[215:216], v176 offset:16384
	v_cvt_pk_fp8_f32 v164, v166, v165 op_sel:[0,0,1]
	s_wait_dscnt 0x0
	;;#ASMSTART
	v_cvt_off_f32_i4 v166, v215
	;;#ASMEND
	v_ashrrev_i32_e32 v165, 16, v215
	;;#ASMSTART
	v_cvt_off_f32_i4 v167, v165
	;;#ASMEND
	v_mov_b32_e32 v165, 0
	v_ashrrev_i32_e32 v168, 24, v215
	v_ashrrev_i32_e32 v217, 24, v216
	s_delay_alu instid0(VALU_DEP_3)
	v_cvt_pk_fp8_f32 v165, v166, v167
	v_ashrrev_i32_e32 v166, 8, v215
	;;#ASMSTART
	v_cvt_off_f32_i4 v167, v166
	;;#ASMEND
	v_mov_b32_e32 v166, 0
	;;#ASMSTART
	v_cvt_off_f32_i4 v168, v168
	;;#ASMEND
	v_add_nc_u32_e32 v207, v207, v204
	s_delay_alu instid0(VALU_DEP_2) | instskip(SKIP_4) | instid1(VALU_DEP_1)
	v_cvt_pk_fp8_f32 v166, v167, v168
	v_ashrrev_i32_e32 v167, 4, v215
	;;#ASMSTART
	v_cvt_off_f32_i4 v167, v167
	;;#ASMEND
	v_ashrrev_i32_e32 v168, 20, v215
	;;#ASMSTART
	v_cvt_off_f32_i4 v168, v168
	;;#ASMEND
	v_cvt_pk_fp8_f32 v165, v167, v168 op_sel:[0,0,1]
	v_ashrrev_i32_e32 v167, 12, v215
	;;#ASMSTART
	v_cvt_off_f32_i4 v167, v167
	;;#ASMEND
	v_ashrrev_i32_e32 v168, 28, v215
	;;#ASMSTART
	v_cvt_off_f32_i4 v168, v168
	;;#ASMEND
	s_delay_alu instid0(VALU_DEP_1) | instskip(SKIP_4) | instid1(VALU_DEP_1)
	v_cvt_pk_fp8_f32 v166, v167, v168 op_sel:[0,0,1]
	v_ashrrev_i32_e32 v167, 16, v216
	;;#ASMSTART
	v_cvt_off_f32_i4 v168, v216
	;;#ASMEND
	;;#ASMSTART
	v_cvt_off_f32_i4 v215, v167
	;;#ASMEND
	v_mov_b32_e32 v167, 0
	v_cvt_pk_fp8_f32 v167, v168, v215
	v_ashrrev_i32_e32 v168, 8, v216
	;;#ASMSTART
	v_cvt_off_f32_i4 v215, v168
	;;#ASMEND
	v_mov_b32_e32 v168, 0
	;;#ASMSTART
	v_cvt_off_f32_i4 v217, v217
	;;#ASMEND
	s_delay_alu instid0(VALU_DEP_1) | instskip(SKIP_4) | instid1(VALU_DEP_1)
	v_cvt_pk_fp8_f32 v168, v215, v217
	v_ashrrev_i32_e32 v215, 4, v216
	;;#ASMSTART
	v_cvt_off_f32_i4 v215, v215
	;;#ASMEND
	v_ashrrev_i32_e32 v217, 20, v216
	;;#ASMSTART
	v_cvt_off_f32_i4 v217, v217
	;;#ASMEND
	v_cvt_pk_fp8_f32 v167, v215, v217 op_sel:[0,0,1]
	v_ashrrev_i32_e32 v215, 12, v216
	v_ashrrev_i32_e32 v216, 28, v216
	;;#ASMSTART
	v_cvt_off_f32_i4 v215, v215
	;;#ASMEND
	;;#ASMSTART
	v_cvt_off_f32_i4 v216, v216
	;;#ASMEND
	s_delay_alu instid0(VALU_DEP_1)
	v_cvt_pk_fp8_f32 v168, v215, v216 op_sel:[0,0,1]
	ds_load_b64 v[215:216], v175 offset:16384
	s_wait_dscnt 0x0
	;;#ASMSTART
	v_cvt_off_f32_i4 v218, v215
	;;#ASMEND
	v_ashrrev_i32_e32 v217, 16, v215
	;;#ASMSTART
	v_cvt_off_f32_i4 v219, v217
	;;#ASMEND
	v_mov_b32_e32 v217, 0
	v_ashrrev_i32_e32 v220, 24, v215
	v_ashrrev_i32_e32 v221, 24, v216
	s_delay_alu instid0(VALU_DEP_3) | instskip(SKIP_4) | instid1(VALU_DEP_1)
	v_cvt_pk_fp8_f32 v217, v218, v219
	v_ashrrev_i32_e32 v218, 8, v215
	;;#ASMSTART
	v_cvt_off_f32_i4 v219, v218
	;;#ASMEND
	v_mov_b32_e32 v218, 0
	;;#ASMSTART
	v_cvt_off_f32_i4 v220, v220
	;;#ASMEND
	v_cvt_pk_fp8_f32 v218, v219, v220
	v_ashrrev_i32_e32 v219, 4, v215
	;;#ASMSTART
	v_cvt_off_f32_i4 v219, v219
	;;#ASMEND
	v_ashrrev_i32_e32 v220, 20, v215
	;;#ASMSTART
	v_cvt_off_f32_i4 v220, v220
	;;#ASMEND
	s_delay_alu instid0(VALU_DEP_1) | instskip(SKIP_4) | instid1(VALU_DEP_1)
	v_cvt_pk_fp8_f32 v217, v219, v220 op_sel:[0,0,1]
	v_ashrrev_i32_e32 v219, 12, v215
	;;#ASMSTART
	v_cvt_off_f32_i4 v219, v219
	;;#ASMEND
	v_ashrrev_i32_e32 v215, 28, v215
	;;#ASMSTART
	v_cvt_off_f32_i4 v215, v215
	;;#ASMEND
	v_cvt_pk_fp8_f32 v218, v219, v215 op_sel:[0,0,1]
	v_mov_b32_e32 v219, 0
	v_ashrrev_i32_e32 v215, 16, v216
	;;#ASMSTART
	v_cvt_off_f32_i4 v220, v216
	;;#ASMEND
	;;#ASMSTART
	v_cvt_off_f32_i4 v215, v215
	;;#ASMEND
	s_delay_alu instid0(VALU_DEP_1) | instskip(SKIP_4) | instid1(VALU_DEP_1)
	v_cvt_pk_fp8_f32 v219, v220, v215
	v_mov_b32_e32 v220, 0
	v_ashrrev_i32_e32 v215, 8, v216
	;;#ASMSTART
	v_cvt_off_f32_i4 v215, v215
	;;#ASMEND
	;;#ASMSTART
	v_cvt_off_f32_i4 v221, v221
	;;#ASMEND
	v_cvt_pk_fp8_f32 v220, v215, v221
	v_ashrrev_i32_e32 v215, 4, v216
	;;#ASMSTART
	v_cvt_off_f32_i4 v215, v215
	;;#ASMEND
	v_ashrrev_i32_e32 v221, 20, v216
	;;#ASMSTART
	v_cvt_off_f32_i4 v221, v221
	;;#ASMEND
	s_delay_alu instid0(VALU_DEP_1) | instskip(SKIP_4) | instid1(VALU_DEP_1)
	v_cvt_pk_fp8_f32 v219, v215, v221 op_sel:[0,0,1]
	v_ashrrev_i32_e32 v215, 12, v216
	v_ashrrev_i32_e32 v216, 28, v216
	;;#ASMSTART
	v_cvt_off_f32_i4 v215, v215
	;;#ASMEND
	;;#ASMSTART
	v_cvt_off_f32_i4 v216, v216
	;;#ASMEND
	v_cvt_pk_fp8_f32 v220, v215, v216 op_sel:[0,0,1]
	ds_load_b64 v[215:216], v174 offset:16384
	s_wait_dscnt 0x0
	;;#ASMSTART
	v_cvt_off_f32_i4 v222, v215
	;;#ASMEND
	v_ashrrev_i32_e32 v221, 16, v215
	;;#ASMSTART
	v_cvt_off_f32_i4 v223, v221
	;;#ASMEND
	v_mov_b32_e32 v221, 0
	v_ashrrev_i32_e32 v224, 24, v215
	v_ashrrev_i32_e32 v225, 24, v216
	s_delay_alu instid0(VALU_DEP_3) | instskip(SKIP_4) | instid1(VALU_DEP_1)
	v_cvt_pk_fp8_f32 v221, v222, v223
	v_ashrrev_i32_e32 v222, 8, v215
	;;#ASMSTART
	v_cvt_off_f32_i4 v223, v222
	;;#ASMEND
	v_mov_b32_e32 v222, 0
	;;#ASMSTART
	v_cvt_off_f32_i4 v224, v224
	;;#ASMEND
	v_cvt_pk_fp8_f32 v222, v223, v224
	v_ashrrev_i32_e32 v223, 4, v215
	;;#ASMSTART
	v_cvt_off_f32_i4 v223, v223
	;;#ASMEND
	v_ashrrev_i32_e32 v224, 20, v215
	;;#ASMSTART
	v_cvt_off_f32_i4 v224, v224
	;;#ASMEND
	s_delay_alu instid0(VALU_DEP_1) | instskip(SKIP_4) | instid1(VALU_DEP_1)
	v_cvt_pk_fp8_f32 v221, v223, v224 op_sel:[0,0,1]
	v_ashrrev_i32_e32 v223, 12, v215
	;;#ASMSTART
	v_cvt_off_f32_i4 v223, v223
	;;#ASMEND
	v_ashrrev_i32_e32 v215, 28, v215
	;;#ASMSTART
	v_cvt_off_f32_i4 v215, v215
	;;#ASMEND
	v_cvt_pk_fp8_f32 v222, v223, v215 op_sel:[0,0,1]
	v_mov_b32_e32 v223, 0
	v_ashrrev_i32_e32 v215, 16, v216
	;;#ASMSTART
	v_cvt_off_f32_i4 v224, v216
	;;#ASMEND
	;;#ASMSTART
	v_cvt_off_f32_i4 v215, v215
	;;#ASMEND
	s_delay_alu instid0(VALU_DEP_1) | instskip(SKIP_4) | instid1(VALU_DEP_1)
	v_cvt_pk_fp8_f32 v223, v224, v215
	v_mov_b32_e32 v224, 0
	v_ashrrev_i32_e32 v215, 8, v216
	;;#ASMSTART
	v_cvt_off_f32_i4 v215, v215
	;;#ASMEND
	;;#ASMSTART
	v_cvt_off_f32_i4 v225, v225
	;;#ASMEND
	v_cvt_pk_fp8_f32 v224, v215, v225
	v_ashrrev_i32_e32 v215, 4, v216
	;;#ASMSTART
	v_cvt_off_f32_i4 v215, v215
	;;#ASMEND
	v_ashrrev_i32_e32 v225, 20, v216
	;;#ASMSTART
	v_cvt_off_f32_i4 v225, v225
	;;#ASMEND
	s_delay_alu instid0(VALU_DEP_1) | instskip(SKIP_4) | instid1(VALU_DEP_1)
	v_cvt_pk_fp8_f32 v223, v215, v225 op_sel:[0,0,1]
	v_ashrrev_i32_e32 v215, 12, v216
	v_ashrrev_i32_e32 v216, 28, v216
	;;#ASMSTART
	v_cvt_off_f32_i4 v215, v215
	;;#ASMEND
	;;#ASMSTART
	v_cvt_off_f32_i4 v216, v216
	;;#ASMEND
	v_cvt_pk_fp8_f32 v224, v215, v216 op_sel:[0,0,1]
	ds_load_b64 v[215:216], v173 offset:16384
	s_wait_dscnt 0x0
	;;#ASMSTART
	v_cvt_off_f32_i4 v226, v215
	;;#ASMEND
	v_ashrrev_i32_e32 v225, 16, v215
	;;#ASMSTART
	v_cvt_off_f32_i4 v227, v225
	;;#ASMEND
	v_mov_b32_e32 v225, 0
	v_ashrrev_i32_e32 v228, 24, v215
	v_ashrrev_i32_e32 v229, 24, v216
	s_delay_alu instid0(VALU_DEP_3) | instskip(SKIP_4) | instid1(VALU_DEP_1)
	v_cvt_pk_fp8_f32 v225, v226, v227
	v_ashrrev_i32_e32 v226, 8, v215
	;;#ASMSTART
	v_cvt_off_f32_i4 v227, v226
	;;#ASMEND
	v_mov_b32_e32 v226, 0
	;;#ASMSTART
	v_cvt_off_f32_i4 v228, v228
	;;#ASMEND
	v_cvt_pk_fp8_f32 v226, v227, v228
	v_ashrrev_i32_e32 v227, 4, v215
	;;#ASMSTART
	v_cvt_off_f32_i4 v227, v227
	;;#ASMEND
	v_ashrrev_i32_e32 v228, 20, v215
	;;#ASMSTART
	v_cvt_off_f32_i4 v228, v228
	;;#ASMEND
	s_delay_alu instid0(VALU_DEP_1) | instskip(SKIP_4) | instid1(VALU_DEP_1)
	v_cvt_pk_fp8_f32 v225, v227, v228 op_sel:[0,0,1]
	v_ashrrev_i32_e32 v227, 12, v215
	;;#ASMSTART
	v_cvt_off_f32_i4 v227, v227
	;;#ASMEND
	v_ashrrev_i32_e32 v215, 28, v215
	;;#ASMSTART
	v_cvt_off_f32_i4 v215, v215
	;;#ASMEND
	v_cvt_pk_fp8_f32 v226, v227, v215 op_sel:[0,0,1]
	v_mov_b32_e32 v227, 0
	v_ashrrev_i32_e32 v215, 16, v216
	;;#ASMSTART
	v_cvt_off_f32_i4 v228, v216
	;;#ASMEND
	;;#ASMSTART
	v_cvt_off_f32_i4 v215, v215
	;;#ASMEND
	s_delay_alu instid0(VALU_DEP_1) | instskip(SKIP_4) | instid1(VALU_DEP_1)
	v_cvt_pk_fp8_f32 v227, v228, v215
	v_mov_b32_e32 v228, 0
	v_ashrrev_i32_e32 v215, 8, v216
	;;#ASMSTART
	v_cvt_off_f32_i4 v215, v215
	;;#ASMEND
	;;#ASMSTART
	v_cvt_off_f32_i4 v229, v229
	;;#ASMEND
	v_cvt_pk_fp8_f32 v228, v215, v229
	v_ashrrev_i32_e32 v215, 4, v216
	;;#ASMSTART
	v_cvt_off_f32_i4 v215, v215
	;;#ASMEND
	v_ashrrev_i32_e32 v229, 20, v216
	;;#ASMSTART
	v_cvt_off_f32_i4 v229, v229
	;;#ASMEND
	s_delay_alu instid0(VALU_DEP_1) | instskip(SKIP_4) | instid1(VALU_DEP_1)
	v_cvt_pk_fp8_f32 v227, v215, v229 op_sel:[0,0,1]
	v_ashrrev_i32_e32 v215, 12, v216
	v_ashrrev_i32_e32 v216, 28, v216
	;;#ASMSTART
	v_cvt_off_f32_i4 v215, v215
	;;#ASMEND
	;;#ASMSTART
	v_cvt_off_f32_i4 v216, v216
	;;#ASMEND
	v_cvt_pk_fp8_f32 v228, v215, v216 op_sel:[0,0,1]
	ds_load_b64 v[215:216], v172 offset:16384
	s_wait_dscnt 0x0
	;;#ASMSTART
	v_cvt_off_f32_i4 v230, v215
	;;#ASMEND
	v_ashrrev_i32_e32 v229, 16, v215
	;;#ASMSTART
	v_cvt_off_f32_i4 v231, v229
	;;#ASMEND
	v_mov_b32_e32 v229, 0
	v_ashrrev_i32_e32 v232, 24, v215
	v_ashrrev_i32_e32 v233, 24, v216
	s_delay_alu instid0(VALU_DEP_3) | instskip(SKIP_4) | instid1(VALU_DEP_1)
	v_cvt_pk_fp8_f32 v229, v230, v231
	v_ashrrev_i32_e32 v230, 8, v215
	;;#ASMSTART
	v_cvt_off_f32_i4 v231, v230
	;;#ASMEND
	v_mov_b32_e32 v230, 0
	;;#ASMSTART
	v_cvt_off_f32_i4 v232, v232
	;;#ASMEND
	v_cvt_pk_fp8_f32 v230, v231, v232
	v_ashrrev_i32_e32 v231, 4, v215
	;;#ASMSTART
	v_cvt_off_f32_i4 v231, v231
	;;#ASMEND
	v_ashrrev_i32_e32 v232, 20, v215
	;;#ASMSTART
	v_cvt_off_f32_i4 v232, v232
	;;#ASMEND
	s_delay_alu instid0(VALU_DEP_1) | instskip(SKIP_4) | instid1(VALU_DEP_1)
	v_cvt_pk_fp8_f32 v229, v231, v232 op_sel:[0,0,1]
	v_ashrrev_i32_e32 v231, 12, v215
	;;#ASMSTART
	v_cvt_off_f32_i4 v231, v231
	;;#ASMEND
	v_ashrrev_i32_e32 v215, 28, v215
	;;#ASMSTART
	v_cvt_off_f32_i4 v215, v215
	;;#ASMEND
	v_cvt_pk_fp8_f32 v230, v231, v215 op_sel:[0,0,1]
	v_mov_b32_e32 v231, 0
	v_ashrrev_i32_e32 v215, 16, v216
	;;#ASMSTART
	v_cvt_off_f32_i4 v232, v216
	;;#ASMEND
	;;#ASMSTART
	v_cvt_off_f32_i4 v215, v215
	;;#ASMEND
	s_delay_alu instid0(VALU_DEP_1) | instskip(SKIP_4) | instid1(VALU_DEP_1)
	v_cvt_pk_fp8_f32 v231, v232, v215
	v_mov_b32_e32 v232, 0
	v_ashrrev_i32_e32 v215, 8, v216
	;;#ASMSTART
	v_cvt_off_f32_i4 v215, v215
	;;#ASMEND
	;;#ASMSTART
	v_cvt_off_f32_i4 v233, v233
	;;#ASMEND
	v_cvt_pk_fp8_f32 v232, v215, v233
	v_ashrrev_i32_e32 v215, 4, v216
	;;#ASMSTART
	v_cvt_off_f32_i4 v215, v215
	;;#ASMEND
	v_ashrrev_i32_e32 v233, 20, v216
	;;#ASMSTART
	v_cvt_off_f32_i4 v233, v233
	;;#ASMEND
	s_delay_alu instid0(VALU_DEP_1) | instskip(SKIP_4) | instid1(VALU_DEP_1)
	v_cvt_pk_fp8_f32 v231, v215, v233 op_sel:[0,0,1]
	v_ashrrev_i32_e32 v215, 12, v216
	v_ashrrev_i32_e32 v216, 28, v216
	;;#ASMSTART
	v_cvt_off_f32_i4 v215, v215
	;;#ASMEND
	;;#ASMSTART
	v_cvt_off_f32_i4 v216, v216
	;;#ASMEND
	v_cvt_pk_fp8_f32 v232, v215, v216 op_sel:[0,0,1]
	v_add_nc_u32_e64 v215, 3, s7
	s_delay_alu instid0(VALU_DEP_1) | instskip(NEXT) | instid1(VALU_DEP_1)
	v_sub_nc_u32_e32 v213, v215, v213
	v_mul_lo_u32 v213, v213, s12
	s_delay_alu instid0(VALU_DEP_1) | instskip(SKIP_3) | instid1(VALU_DEP_1)
	v_add3_u32 v213, v213, v214, 0xffffff80
	; sched_barrier mask(0x00000000)
	s_barrier_signal -1
	s_barrier_wait -1
	; sched_barrier mask(0x00000000)
	v_wmma_f32_16x16x16_fp8_fp8 v[57:64], v[153:154], v[133:134], v[57:64]
	v_wmma_f32_16x16x16_fp8_fp8 v[57:64], v[155:156], v[135:136], v[57:64]
	; sched_barrier mask(0x00000000)
	s_setprio 1
	; sched_barrier mask(0x00000000)
	v_wmma_f32_16x16x16_fp8_fp8 v[49:56], v[217:218], v[133:134], v[49:56]
	v_wmma_f32_16x16x16_fp8_fp8 v[33:40], v[153:154], v[137:138], v[33:40]
	;; [unrolled: 1-line block ×60, first 2 shown]
	; sched_barrier mask(0x00000000)
	s_wait_dscnt 0x0
	s_barrier_signal -1
	s_barrier_wait -1
	; sched_barrier mask(0x00000000)
	v_wmma_f32_16x16x16_fp8_fp8 v[1:8], v[229:230], v[81:82], v[1:8]
	s_delay_alu instid0(VALU_DEP_1)
	v_wmma_f32_16x16x16_fp8_fp8 v[1:8], v[231:232], v[83:84], v[1:8]
	; sched_barrier mask(0x00000000)
	s_setprio 0
	; sched_barrier mask(0x00000000)
	v_add_nc_u32_e32 v81, v211, v187
	v_sub_nc_u32_e32 v83, v215, v215
	v_add_nc_u32_e32 v196, 16, v196
	v_add_nc_u32_e32 v205, v205, v206
	;; [unrolled: 1-line block ×3, first 2 shown]
	s_wait_loadcnt 0x3
	ds_store_b128 v81, v[77:80] offset:128
	v_add_nc_u32_e32 v77, v81, v186
	v_add_nc_u32_e32 v197, 16, v197
	;; [unrolled: 1-line block ×5, first 2 shown]
	s_wait_loadcnt 0x2
	ds_store_b128 v77, v[73:76] offset:256
	v_add3_u32 v73, v81, v201, v202
	v_lshrrev_b32_e32 v81, 31, v213
	v_add_nc_u32_e32 v191, 0x100, v191
	s_delay_alu instid0(VALU_DEP_3)
	v_add_nc_u32_e32 v154, v73, v203
	s_wait_loadcnt 0x1
	ds_store_b128 v73, v[69:72] offset:128
	v_and_b32_e32 v69, 0xff000000, v147
	v_add_nc_u32_e32 v81, v213, v81
	s_wait_loadcnt 0x0
	ds_store_b128 v154, v[65:68] offset:128
	v_lshrrev_b32_e32 v65, 31, v207
	v_and_b32_e32 v68, 0xff00, v148
	v_ashrrev_i32_e32 v81, 1, v81
	s_delay_alu instid0(VALU_DEP_3) | instskip(NEXT) | instid1(VALU_DEP_1)
	v_add_nc_u32_e32 v65, v207, v65
	v_ashrrev_i32_e32 v65, 1, v65
	ds_store_b64 v65, v[149:150] offset:16384
	v_add_nc_u32_e32 v65, v207, v188
	s_delay_alu instid0(VALU_DEP_1) | instskip(SKIP_1) | instid1(VALU_DEP_2)
	v_lshrrev_b32_e32 v66, 31, v65
	v_add_nc_u32_e32 v67, v65, v190
	v_add_nc_u32_e32 v66, v65, v66
	v_and_b32_e32 v65, 0xffff0000, v148
	s_delay_alu instid0(VALU_DEP_2) | instskip(SKIP_2) | instid1(VALU_DEP_1)
	v_ashrrev_i32_e32 v66, 1, v66
	ds_store_b64 v66, v[151:152] offset:16384
	v_and_b32_e32 v66, 0xff, v148
	v_or3_b32 v65, v68, v65, v66
	v_and_b32_e32 v68, 0xff0000, v147
	s_delay_alu instid0(VALU_DEP_2) | instskip(NEXT) | instid1(VALU_DEP_2)
	v_or3_b32 v66, v65, 0, 0
	v_or3_b32 v65, v195, v69, v68
	v_and_b32_e32 v68, 0xff, v147
	s_delay_alu instid0(VALU_DEP_2) | instskip(NEXT) | instid1(VALU_DEP_1)
	v_and_or_b32 v65, 0xff00, v147, v65
	v_or_b32_e32 v65, v65, v68
	v_lshrrev_b32_e32 v68, 31, v67
	s_delay_alu instid0(VALU_DEP_1) | instskip(NEXT) | instid1(VALU_DEP_1)
	v_add_nc_u32_e32 v68, v67, v68
	v_ashrrev_i32_e32 v68, 1, v68
	ds_store_b64 v68, v[65:66] offset:16384
	v_add_nc_u32_e32 v65, v67, v189
	s_delay_alu instid0(VALU_DEP_1) | instskip(SKIP_1) | instid1(VALU_DEP_2)
	v_lshrrev_b32_e32 v66, 31, v65
	v_add_nc_u32_e32 v207, v65, v204
	v_add_nc_u32_e32 v66, v65, v66
	s_delay_alu instid0(VALU_DEP_1)
	v_ashrrev_i32_e32 v66, 1, v66
	ds_store_b64 v66, v[145:146] offset:16384
	s_clause 0x3
	buffer_load_b128 v[77:80], v210, s[0:3], null offen offset:384
	buffer_load_b128 v[73:76], v208, s[0:3], null offen offset:384
	buffer_load_b128 v[69:72], v209, s[0:3], null offen offset:384
	buffer_load_b128 v[65:68], v212, s[0:3], null offen offset:384
	buffer_load_b64 v[145:146], v81, s[8:11], null offen
	v_mad_co_u64_u32 v[81:82], null, v83, s12, v[213:214]
	v_lshrrev_b32_e32 v208, 3, v196
	s_delay_alu instid0(VALU_DEP_2) | instskip(SKIP_1) | instid1(VALU_DEP_2)
	v_add_nc_u32_e32 v82, 16, v81
	v_add_nc_u32_e32 v81, 0x90, v81
	v_lshrrev_b32_e32 v84, 31, v82
	s_delay_alu instid0(VALU_DEP_1) | instskip(NEXT) | instid1(VALU_DEP_1)
	v_add_nc_u32_e32 v82, v82, v84
	v_ashrrev_i32_e32 v82, 1, v82
	buffer_load_b64 v[147:148], v82, s[8:11], null offen
	v_lshrrev_b32_e32 v82, 31, v81
	s_delay_alu instid0(VALU_DEP_1) | instskip(NEXT) | instid1(VALU_DEP_1)
	v_add_nc_u32_e32 v82, v81, v82
	v_ashrrev_i32_e32 v82, 1, v82
	buffer_load_b64 v[149:150], v82, s[8:11], null offen
	v_mul_lo_u32 v82, v83, s12
	s_delay_alu instid0(VALU_DEP_1) | instskip(NEXT) | instid1(VALU_DEP_1)
	v_add3_u32 v81, v82, v81, -16
	v_lshrrev_b32_e32 v82, 31, v81
	s_delay_alu instid0(VALU_DEP_1) | instskip(NEXT) | instid1(VALU_DEP_1)
	v_add_nc_u32_e32 v82, v81, v82
	v_ashrrev_i32_e32 v82, 1, v82
	buffer_load_b64 v[151:152], v82, s[8:11], null offen
	v_add_nc_u32_e64 v82, 4, s7
	s_add_co_i32 s7, s7, 2
	s_wait_alu 0xfffe
	s_cmp_lt_i32 s7, s13
	s_delay_alu instid0(VALU_DEP_1) | instskip(NEXT) | instid1(VALU_DEP_1)
	v_sub_nc_u32_e32 v82, v82, v215
	v_mul_lo_u32 v82, v82, s12
	s_delay_alu instid0(VALU_DEP_1)
	v_add3_u32 v209, v82, v81, 0xffffff80
	s_cbranch_scc1 .LBB8_12
; %bb.13:
	s_wait_dscnt 0x0
	s_barrier_signal -1
	s_barrier_wait -1
	ds_load_b64 v[155:156], v180 offset:16384
	ds_load_b128 v[125:128], v183
	ds_load_b128 v[137:140], v178
	ds_load_b128 v[133:136], v178 offset:4096
	ds_load_b128 v[117:120], v183 offset:4096
	;; [unrolled: 1-line block ×9, first 2 shown]
	ds_load_b128 v[109:112], v181
	ds_load_b128 v[121:124], v183 offset:12288
	ds_load_b128 v[93:96], v182
	ds_load_b128 v[101:104], v181 offset:12288
	ds_load_b128 v[81:84], v182 offset:12288
	s_wait_dscnt 0x10
	;;#ASMSTART
	v_cvt_off_f32_i4 v159, v155
	;;#ASMEND
	v_ashrrev_i32_e32 v153, 16, v155
	v_ashrrev_i32_e32 v157, 8, v155
	;; [unrolled: 1-line block ×4, first 2 shown]
	;;#ASMSTART
	v_cvt_off_f32_i4 v153, v153
	;;#ASMEND
	;;#ASMSTART
	v_cvt_off_f32_i4 v161, v157
	;;#ASMEND
	v_ashrrev_i32_e32 v157, 20, v155
	;;#ASMSTART
	v_cvt_off_f32_i4 v162, v158
	;;#ASMEND
	;;#ASMSTART
	v_cvt_off_f32_i4 v160, v160
	;;#ASMEND
	v_ashrrev_i32_e32 v158, 12, v155
	v_ashrrev_i32_e32 v155, 28, v155
	;;#ASMSTART
	v_cvt_off_f32_i4 v163, v157
	;;#ASMEND
	v_ashrrev_i32_e32 v157, 16, v156
	v_ashrrev_i32_e32 v164, 8, v156
	;;#ASMSTART
	v_cvt_off_f32_i4 v165, v158
	;;#ASMEND
	;;#ASMSTART
	v_cvt_off_f32_i4 v166, v155
	;;#ASMEND
	;; [unrolled: 3-line block ×4, first 2 shown]
	v_ashrrev_i32_e32 v155, 24, v156
	v_ashrrev_i32_e32 v157, 4, v156
	;; [unrolled: 1-line block ×5, first 2 shown]
	;;#ASMSTART
	v_cvt_off_f32_i4 v164, v164
	;;#ASMEND
	;;#ASMSTART
	v_cvt_off_f32_i4 v192, v155
	;;#ASMEND
	;; [unrolled: 3-line block ×6, first 2 shown]
	ds_load_b64 v[155:156], v179 offset:16384
	s_wait_dscnt 0x0
	;;#ASMSTART
	v_cvt_off_f32_i4 v196, v155
	;;#ASMEND
	s_lshl_b64 s[0:1], s[24:25], 1
	s_mov_b32 s3, 0
	s_mov_b32 s2, s17
	s_add_nc_u64 s[8:9], s[20:21], s[0:1]
	s_mul_u64 s[0:1], s[22:23], s[2:3]
	v_ashrrev_i32_e32 v157, 16, v155
	v_ashrrev_i32_e32 v158, 8, v155
	;; [unrolled: 1-line block ×4, first 2 shown]
	;;#ASMSTART
	v_cvt_off_f32_i4 v199, v157
	;;#ASMEND
	v_ashrrev_i32_e32 v157, 20, v155
	;;#ASMSTART
	v_cvt_off_f32_i4 v200, v158
	;;#ASMEND
	;;#ASMSTART
	v_cvt_off_f32_i4 v197, v197
	;;#ASMEND
	;; [unrolled: 3-line block ×3, first 2 shown]
	v_ashrrev_i32_e32 v158, 12, v155
	v_ashrrev_i32_e32 v155, 28, v155
	;;#ASMSTART
	v_cvt_off_f32_i4 v201, v157
	;;#ASMEND
	v_ashrrev_i32_e32 v157, 16, v156
	v_ashrrev_i32_e32 v202, 8, v156
	;;#ASMSTART
	v_cvt_off_f32_i4 v203, v158
	;;#ASMEND
	;;#ASMSTART
	v_cvt_off_f32_i4 v204, v155
	;;#ASMEND
	;; [unrolled: 3-line block ×4, first 2 shown]
	v_ashrrev_i32_e32 v155, 24, v156
	v_ashrrev_i32_e32 v157, 4, v156
	;; [unrolled: 1-line block ×5, first 2 shown]
	;;#ASMSTART
	v_cvt_off_f32_i4 v202, v202
	;;#ASMEND
	;;#ASMSTART
	v_cvt_off_f32_i4 v209, v155
	;;#ASMEND
	;; [unrolled: 3-line block ×6, first 2 shown]
	ds_load_b64 v[155:156], v177 offset:16384
	s_wait_dscnt 0x0
	;;#ASMSTART
	v_cvt_off_f32_i4 v213, v155
	;;#ASMEND
	v_ashrrev_i32_e32 v157, 16, v155
	v_ashrrev_i32_e32 v158, 8, v155
	;; [unrolled: 1-line block ×4, first 2 shown]
	;;#ASMSTART
	v_cvt_off_f32_i4 v216, v157
	;;#ASMEND
	v_ashrrev_i32_e32 v157, 20, v155
	;;#ASMSTART
	v_cvt_off_f32_i4 v217, v158
	;;#ASMEND
	;;#ASMSTART
	v_cvt_off_f32_i4 v214, v214
	;;#ASMEND
	;;#ASMSTART
	v_cvt_off_f32_i4 v215, v215
	;;#ASMEND
	v_ashrrev_i32_e32 v158, 12, v155
	v_ashrrev_i32_e32 v155, 28, v155
	;;#ASMSTART
	v_cvt_off_f32_i4 v218, v157
	;;#ASMEND
	v_ashrrev_i32_e32 v157, 16, v156
	v_ashrrev_i32_e32 v219, 8, v156
	;;#ASMSTART
	v_cvt_off_f32_i4 v220, v158
	;;#ASMEND
	;;#ASMSTART
	v_cvt_off_f32_i4 v221, v155
	;;#ASMEND
	;; [unrolled: 3-line block ×4, first 2 shown]
	v_ashrrev_i32_e32 v155, 24, v156
	v_ashrrev_i32_e32 v157, 4, v156
	;; [unrolled: 1-line block ×5, first 2 shown]
	;;#ASMSTART
	v_cvt_off_f32_i4 v219, v219
	;;#ASMEND
	;;#ASMSTART
	v_cvt_off_f32_i4 v225, v155
	;;#ASMEND
	;; [unrolled: 3-line block ×6, first 2 shown]
	ds_load_b64 v[155:156], v176 offset:16384
	v_dual_mov_b32 v157, 0 :: v_dual_mov_b32 v158, 0
	s_wait_dscnt 0x0
	;;#ASMSTART
	v_cvt_off_f32_i4 v229, v155
	;;#ASMEND
	s_delay_alu instid0(VALU_DEP_1) | instskip(SKIP_3) | instid1(VALU_DEP_4)
	v_cvt_pk_fp8_f32 v157, v159, v153
	v_mov_b32_e32 v159, 0
	v_cvt_pk_fp8_f32 v158, v161, v162
	v_mov_b32_e32 v153, 0
	v_cvt_pk_fp8_f32 v157, v160, v163 op_sel:[0,0,1]
	v_mov_b32_e32 v160, 0
	v_cvt_pk_fp8_f32 v159, v167, v168
	v_cvt_pk_fp8_f32 v158, v165, v166 op_sel:[0,0,1]
	v_dual_mov_b32 v165, 0 :: v_dual_mov_b32 v166, 0
	s_delay_alu instid0(VALU_DEP_4)
	v_cvt_pk_fp8_f32 v160, v164, v192
	v_mov_b32_e32 v164, 0
	v_cvt_pk_fp8_f32 v159, v193, v194 op_sel:[0,0,1]
	v_ashrrev_i32_e32 v161, 16, v155
	v_ashrrev_i32_e32 v162, 8, v155
	;; [unrolled: 1-line block ×3, first 2 shown]
	;;#ASMSTART
	v_cvt_off_f32_i4 v230, v161
	;;#ASMEND
	v_ashrrev_i32_e32 v161, 20, v155
	v_ashrrev_i32_e32 v167, 4, v155
	;;#ASMSTART
	v_cvt_off_f32_i4 v231, v162
	;;#ASMEND
	;;#ASMSTART
	v_cvt_off_f32_i4 v232, v163
	;;#ASMEND
	;; [unrolled: 3-line block ×3, first 2 shown]
	v_ashrrev_i32_e32 v162, 12, v155
	v_ashrrev_i32_e32 v155, 28, v155
	;;#ASMSTART
	v_cvt_off_f32_i4 v234, v161
	;;#ASMEND
	v_ashrrev_i32_e32 v161, 16, v156
	v_ashrrev_i32_e32 v163, 8, v156
	;;#ASMSTART
	v_cvt_off_f32_i4 v235, v162
	;;#ASMEND
	;;#ASMSTART
	v_cvt_off_f32_i4 v236, v155
	;;#ASMEND
	;; [unrolled: 3-line block ×5, first 2 shown]
	v_ashrrev_i32_e32 v155, 24, v156
	v_ashrrev_i32_e32 v161, 4, v156
	;; [unrolled: 1-line block ×5, first 2 shown]
	;;#ASMSTART
	v_cvt_off_f32_i4 v240, v155
	;;#ASMEND
	;;#ASMSTART
	v_cvt_off_f32_i4 v241, v161
	;;#ASMEND
	;; [unrolled: 3-line block ×5, first 2 shown]
	ds_load_b64 v[155:156], v175 offset:16384
	v_dual_mov_b32 v161, 0 :: v_dual_mov_b32 v162, 0
	v_mov_b32_e32 v163, 0
	v_cvt_pk_fp8_f32 v164, v202, v209
	v_cvt_pk_fp8_f32 v160, v191, v195 op_sel:[0,0,1]
	s_delay_alu instid0(VALU_DEP_4)
	v_cvt_pk_fp8_f32 v161, v196, v199
	v_cvt_pk_fp8_f32 v162, v200, v197
	;; [unrolled: 1-line block ×3, first 2 shown]
	s_wait_dscnt 0x0
	;;#ASMSTART
	v_cvt_off_f32_i4 v197, v155
	;;#ASMEND
	v_cvt_pk_fp8_f32 v164, v208, v212 op_sel:[0,0,1]
	v_cvt_pk_fp8_f32 v161, v198, v201 op_sel:[0,0,1]
	;; [unrolled: 1-line block ×4, first 2 shown]
	v_cvt_pk_fp8_f32 v166, v217, v214
	v_dual_mov_b32 v194, 0 :: v_dual_mov_b32 v195, 0
	v_mov_b32_e32 v193, 0
	s_delay_alu instid0(VALU_DEP_3)
	v_cvt_pk_fp8_f32 v166, v220, v221 op_sel:[0,0,1]
	v_ashrrev_i32_e32 v167, 16, v155
	v_ashrrev_i32_e32 v168, 8, v155
	;; [unrolled: 1-line block ×3, first 2 shown]
	;;#ASMSTART
	v_cvt_off_f32_i4 v198, v167
	;;#ASMEND
	v_ashrrev_i32_e32 v167, 20, v155
	v_ashrrev_i32_e32 v192, 4, v155
	;;#ASMSTART
	v_cvt_off_f32_i4 v199, v168
	;;#ASMEND
	;;#ASMSTART
	v_cvt_off_f32_i4 v200, v191
	;;#ASMEND
	;; [unrolled: 3-line block ×3, first 2 shown]
	v_ashrrev_i32_e32 v168, 12, v155
	v_ashrrev_i32_e32 v155, 28, v155
	;;#ASMSTART
	v_cvt_off_f32_i4 v202, v167
	;;#ASMEND
	v_ashrrev_i32_e32 v167, 16, v156
	v_ashrrev_i32_e32 v191, 8, v156
	;;#ASMSTART
	v_cvt_off_f32_i4 v203, v168
	;;#ASMEND
	;;#ASMSTART
	v_cvt_off_f32_i4 v204, v155
	;;#ASMEND
	;; [unrolled: 3-line block ×5, first 2 shown]
	v_ashrrev_i32_e32 v155, 24, v156
	v_ashrrev_i32_e32 v167, 4, v156
	;; [unrolled: 1-line block ×5, first 2 shown]
	;;#ASMSTART
	v_cvt_off_f32_i4 v209, v155
	;;#ASMEND
	;;#ASMSTART
	v_cvt_off_f32_i4 v210, v167
	;;#ASMEND
	;; [unrolled: 3-line block ×4, first 2 shown]
	v_mov_b32_e32 v168, 0
	v_cvt_pk_fp8_f32 v165, v213, v216
	;;#ASMSTART
	v_cvt_off_f32_i4 v213, v156
	;;#ASMEND
	ds_load_b64 v[155:156], v174 offset:16384
	v_dual_mov_b32 v167, 0 :: v_dual_mov_b32 v192, 0
	v_cvt_pk_fp8_f32 v168, v219, v225
	v_mov_b32_e32 v191, 0
	v_cvt_pk_fp8_f32 v165, v215, v218 op_sel:[0,0,1]
	s_delay_alu instid0(VALU_DEP_4)
	v_cvt_pk_fp8_f32 v167, v222, v223
	s_wait_dscnt 0x0
	;;#ASMSTART
	v_cvt_off_f32_i4 v215, v155
	;;#ASMEND
	v_cvt_pk_fp8_f32 v168, v224, v228 op_sel:[0,0,1]
	v_cvt_pk_fp8_f32 v191, v229, v230
	v_cvt_pk_fp8_f32 v195, v197, v198
	v_cvt_pk_fp8_f32 v167, v226, v227 op_sel:[0,0,1]
	v_dual_mov_b32 v197, 0 :: v_dual_mov_b32 v198, 0
	v_cvt_pk_fp8_f32 v192, v231, v232
	s_delay_alu instid0(VALU_DEP_4)
	v_cvt_pk_fp8_f32 v195, v201, v202 op_sel:[0,0,1]
	v_mov_b32_e32 v202, 0
	v_cvt_pk_fp8_f32 v191, v233, v234 op_sel:[0,0,1]
	v_cvt_pk_fp8_f32 v198, v208, v209
	v_cvt_pk_fp8_f32 v192, v235, v236 op_sel:[0,0,1]
	v_ashrrev_i32_e32 v196, 16, v155
	v_ashrrev_i32_e32 v214, 8, v155
	;; [unrolled: 1-line block ×4, first 2 shown]
	;;#ASMSTART
	v_cvt_off_f32_i4 v218, v196
	;;#ASMEND
	v_ashrrev_i32_e32 v196, 20, v155
	;;#ASMSTART
	v_cvt_off_f32_i4 v214, v214
	;;#ASMEND
	;;#ASMSTART
	v_cvt_off_f32_i4 v216, v216
	;;#ASMEND
	;; [unrolled: 3-line block ×3, first 2 shown]
	v_ashrrev_i32_e32 v219, 12, v155
	v_ashrrev_i32_e32 v155, 28, v155
	;;#ASMSTART
	v_cvt_off_f32_i4 v220, v196
	;;#ASMEND
	v_ashrrev_i32_e32 v196, 16, v156
	v_ashrrev_i32_e32 v221, 8, v156
	;;#ASMSTART
	v_cvt_off_f32_i4 v219, v219
	;;#ASMEND
	;;#ASMSTART
	v_cvt_off_f32_i4 v222, v155
	;;#ASMEND
	;; [unrolled: 3-line block ×4, first 2 shown]
	v_ashrrev_i32_e32 v155, 24, v156
	v_ashrrev_i32_e32 v196, 4, v156
	;; [unrolled: 1-line block ×5, first 2 shown]
	;;#ASMSTART
	v_cvt_off_f32_i4 v221, v221
	;;#ASMEND
	;;#ASMSTART
	v_cvt_off_f32_i4 v227, v155
	;;#ASMEND
	;; [unrolled: 3-line block ×6, first 2 shown]
	ds_load_b64 v[155:156], v173 offset:16384
	v_mov_b32_e32 v196, 0
	s_wait_dscnt 0x0
	;;#ASMSTART
	v_cvt_off_f32_i4 v208, v155
	;;#ASMEND
	v_cvt_pk_fp8_f32 v193, v237, v238
	v_mov_b32_e32 v201, 0
	v_cvt_pk_fp8_f32 v198, v212, v213 op_sel:[0,0,1]
	v_cvt_pk_fp8_f32 v196, v199, v200
	v_dual_mov_b32 v199, 0 :: v_dual_mov_b32 v200, 0
	v_cvt_pk_fp8_f32 v197, v205, v206
	v_cvt_pk_fp8_f32 v194, v239, v240
	s_delay_alu instid0(VALU_DEP_4) | instskip(NEXT) | instid1(VALU_DEP_4)
	v_cvt_pk_fp8_f32 v196, v203, v204 op_sel:[0,0,1]
	v_cvt_pk_fp8_f32 v199, v215, v218
	v_cvt_pk_fp8_f32 v200, v214, v216
	v_cvt_pk_fp8_f32 v197, v210, v211 op_sel:[0,0,1]
	v_cvt_pk_fp8_f32 v202, v221, v227
	v_cvt_pk_fp8_f32 v193, v241, v242 op_sel:[0,0,1]
	v_cvt_pk_fp8_f32 v194, v243, v244 op_sel:[0,0,1]
	;; [unrolled: 1-line block ×4, first 2 shown]
	v_ashrrev_i32_e32 v203, 16, v155
	v_ashrrev_i32_e32 v204, 8, v155
	;; [unrolled: 1-line block ×3, first 2 shown]
	;;#ASMSTART
	v_cvt_off_f32_i4 v209, v203
	;;#ASMEND
	v_ashrrev_i32_e32 v203, 20, v155
	v_ashrrev_i32_e32 v206, 4, v155
	;;#ASMSTART
	v_cvt_off_f32_i4 v210, v204
	;;#ASMEND
	;;#ASMSTART
	v_cvt_off_f32_i4 v211, v205
	;;#ASMEND
	;; [unrolled: 3-line block ×3, first 2 shown]
	v_ashrrev_i32_e32 v204, 12, v155
	v_ashrrev_i32_e32 v155, 28, v155
	;;#ASMSTART
	v_cvt_off_f32_i4 v215, v203
	;;#ASMEND
	v_ashrrev_i32_e32 v203, 16, v156
	v_ashrrev_i32_e32 v205, 8, v156
	;;#ASMSTART
	v_cvt_off_f32_i4 v216, v204
	;;#ASMEND
	;;#ASMSTART
	v_cvt_off_f32_i4 v218, v155
	;;#ASMEND
	;; [unrolled: 3-line block ×5, first 2 shown]
	v_ashrrev_i32_e32 v155, 24, v156
	v_ashrrev_i32_e32 v203, 4, v156
	;; [unrolled: 1-line block ×5, first 2 shown]
	;;#ASMSTART
	v_cvt_off_f32_i4 v233, v155
	;;#ASMEND
	;;#ASMSTART
	v_cvt_off_f32_i4 v234, v203
	;;#ASMEND
	;; [unrolled: 3-line block ×5, first 2 shown]
	ds_load_b64 v[155:156], v172 offset:16384
	v_dual_mov_b32 v203, 0 :: v_dual_mov_b32 v206, 0
	v_dual_mov_b32 v204, 0 :: v_dual_mov_b32 v205, 0
	v_cvt_pk_fp8_f32 v201, v223, v224
	s_delay_alu instid0(VALU_DEP_3) | instskip(SKIP_1) | instid1(VALU_DEP_4)
	v_cvt_pk_fp8_f32 v203, v208, v209
	v_mov_b32_e32 v208, 0
	v_cvt_pk_fp8_f32 v204, v210, v211
	s_wait_dscnt 0x0
	;;#ASMSTART
	v_cvt_off_f32_i4 v210, v155
	;;#ASMEND
	v_cvt_pk_fp8_f32 v205, v230, v231
	v_cvt_pk_fp8_f32 v206, v232, v233
	v_cvt_pk_fp8_f32 v203, v214, v215 op_sel:[0,0,1]
	v_cvt_pk_fp8_f32 v201, v228, v225 op_sel:[0,0,1]
	;; [unrolled: 1-line block ×6, first 2 shown]
	v_ashrrev_i32_e32 v209, 16, v155
	;;#ASMSTART
	v_cvt_off_f32_i4 v209, v209
	;;#ASMEND
	s_delay_alu instid0(VALU_DEP_1)
	v_cvt_pk_fp8_f32 v208, v210, v209
	v_mov_b32_e32 v209, 0
	v_ashrrev_i32_e32 v211, 8, v155
	v_ashrrev_i32_e32 v212, 24, v155
	;;#ASMSTART
	v_cvt_off_f32_i4 v210, v211
	;;#ASMEND
	;;#ASMSTART
	v_cvt_off_f32_i4 v211, v212
	;;#ASMEND
	s_delay_alu instid0(VALU_DEP_2)
	v_cvt_pk_fp8_f32 v209, v210, v211
	v_ashrrev_i32_e32 v212, 4, v155
	v_ashrrev_i32_e32 v210, 12, v155
	;; [unrolled: 1-line block ×4, first 2 shown]
	;;#ASMSTART
	v_cvt_off_f32_i4 v211, v212
	;;#ASMEND
	;;#ASMSTART
	v_cvt_off_f32_i4 v212, v213
	;;#ASMEND
	;; [unrolled: 3-line block ×4, first 2 shown]
	v_cvt_pk_fp8_f32 v209, v210, v155 op_sel:[0,0,1]
	v_mov_b32_e32 v210, 0
	v_cvt_pk_fp8_f32 v208, v211, v212 op_sel:[0,0,1]
	v_ashrrev_i32_e32 v155, 16, v156
	;;#ASMSTART
	v_cvt_off_f32_i4 v211, v156
	;;#ASMEND
	;;#ASMSTART
	v_cvt_off_f32_i4 v155, v155
	;;#ASMEND
	s_delay_alu instid0(VALU_DEP_1)
	v_cvt_pk_fp8_f32 v210, v211, v155
	v_mov_b32_e32 v211, 0
	v_ashrrev_i32_e32 v212, 8, v156
	v_ashrrev_i32_e32 v213, 24, v156
	;;#ASMSTART
	v_cvt_off_f32_i4 v155, v212
	;;#ASMEND
	;;#ASMSTART
	v_cvt_off_f32_i4 v212, v213
	;;#ASMEND
	s_delay_alu instid0(VALU_DEP_2)
	v_cvt_pk_fp8_f32 v211, v155, v212
	v_ashrrev_i32_e32 v213, 4, v156
	v_ashrrev_i32_e32 v214, 20, v156
	;; [unrolled: 1-line block ×4, first 2 shown]
	;;#ASMSTART
	v_cvt_off_f32_i4 v212, v213
	;;#ASMEND
	;;#ASMSTART
	v_cvt_off_f32_i4 v213, v214
	;;#ASMEND
	v_cvt_pk_fp8_f32 v210, v212, v213 op_sel:[0,0,1]
	;;#ASMSTART
	v_cvt_off_f32_i4 v155, v155
	;;#ASMEND
	;;#ASMSTART
	v_cvt_off_f32_i4 v156, v156
	;;#ASMEND
	v_cvt_pk_fp8_f32 v211, v155, v156 op_sel:[0,0,1]
	; sched_barrier mask(0x00000000)
	s_barrier_signal -1
	s_barrier_wait -1
	; sched_barrier mask(0x00000000)
	v_wmma_f32_16x16x16_fp8_fp8 v[57:64], v[157:158], v[137:138], v[57:64]
	s_delay_alu instid0(VALU_DEP_1)
	v_wmma_f32_16x16x16_fp8_fp8 v[57:64], v[159:160], v[139:140], v[57:64]
	; sched_barrier mask(0x00000000)
	s_setprio 1
	; sched_barrier mask(0x00000000)
	v_wmma_f32_16x16x16_fp8_fp8 v[49:56], v[195:196], v[137:138], v[49:56]
	v_wmma_f32_16x16x16_fp8_fp8 v[33:40], v[157:158], v[133:134], v[33:40]
	;; [unrolled: 1-line block ×60, first 2 shown]
	; sched_barrier mask(0x00000000)
	s_wait_dscnt 0x0
	s_barrier_signal -1
	s_barrier_wait -1
	; sched_barrier mask(0x00000000)
	v_wmma_f32_16x16x16_fp8_fp8 v[1:8], v[208:209], v[81:82], v[1:8]
	s_delay_alu instid0(VALU_DEP_1) | instskip(SKIP_4) | instid1(VALU_DEP_3)
	v_wmma_f32_16x16x16_fp8_fp8 v[1:8], v[210:211], v[83:84], v[1:8]
	; sched_barrier mask(0x00000000)
	s_setprio 0
	; sched_barrier mask(0x00000000)
	v_add_nc_u32_e32 v81, v207, v188
	v_add_nc_u32_e32 v82, v154, v187
	v_lshrrev_b32_e32 v84, 31, v207
	v_add_nc_u32_e32 v83, v81, v190
	s_delay_alu instid0(VALU_DEP_3)
	v_add_nc_u32_e32 v85, v82, v186
	s_wait_loadcnt 0x7
	ds_store_b128 v82, v[77:80] offset:128
	v_add_nc_u32_e32 v78, v207, v84
	v_lshrrev_b32_e32 v79, 31, v81
	v_add_nc_u32_e32 v77, v83, v189
	s_wait_loadcnt 0x6
	ds_store_b128 v85, v[73:76] offset:256
	v_lshrrev_b32_e32 v73, 31, v83
	v_add_nc_u32_e32 v75, v85, v184
	v_ashrrev_i32_e32 v76, 1, v78
	v_lshrrev_b32_e32 v74, 31, v77
	v_add_nc_u32_e32 v78, v81, v79
	v_add_nc_u32_e32 v73, v83, v73
	s_wait_loadcnt 0x5
	ds_store_b128 v75, v[69:72] offset:384
	v_add_nc_u32_e32 v74, v77, v74
	v_add_nc_u32_e32 v77, v75, v185
	v_ashrrev_i32_e32 v69, 1, v78
	v_ashrrev_i32_e32 v70, 1, v73
	s_delay_alu instid0(VALU_DEP_4)
	v_ashrrev_i32_e32 v71, 1, v74
	s_wait_loadcnt 0x4
	ds_store_b128 v77, v[65:68] offset:512
	s_wait_loadcnt 0x3
	ds_store_b64 v76, v[145:146] offset:16384
	s_wait_loadcnt 0x0
	ds_store_b64 v69, v[151:152] offset:16384
	ds_store_b64 v70, v[149:150] offset:16384
	;; [unrolled: 1-line block ×3, first 2 shown]
	s_wait_dscnt 0x0
	s_barrier_signal -1
	s_barrier_wait -1
	ds_load_b64 v[129:130], v180 offset:16384
	ds_load_b128 v[109:112], v183
	ds_load_b128 v[121:124], v178
	ds_load_b128 v[117:120], v178 offset:4096
	ds_load_b128 v[101:104], v183 offset:4096
	;; [unrolled: 1-line block ×9, first 2 shown]
	ds_load_b128 v[93:96], v181
	ds_load_b128 v[105:108], v183 offset:12288
	ds_load_b128 v[77:80], v182
	ds_load_b128 v[85:88], v181 offset:12288
	ds_load_b128 v[65:68], v182 offset:12288
	s_wait_dscnt 0x10
	;;#ASMSTART
	v_cvt_off_f32_i4 v133, v129
	;;#ASMEND
	v_ashrrev_i32_e32 v131, 16, v129
	v_ashrrev_i32_e32 v132, 8, v129
	v_ashrrev_i32_e32 v134, 24, v129
	v_ashrrev_i32_e32 v135, 4, v129
	v_ashrrev_i32_e32 v136, 20, v129
	;;#ASMSTART
	v_cvt_off_f32_i4 v137, v131
	;;#ASMEND
	;;#ASMSTART
	v_cvt_off_f32_i4 v138, v132
	;;#ASMEND
	v_ashrrev_i32_e32 v131, 12, v129
	v_ashrrev_i32_e32 v129, 28, v129
	;; [unrolled: 1-line block ×3, first 2 shown]
	;;#ASMSTART
	v_cvt_off_f32_i4 v134, v134
	;;#ASMEND
	;;#ASMSTART
	v_cvt_off_f32_i4 v135, v135
	;;#ASMEND
	;; [unrolled: 3-line block ×3, first 2 shown]
	v_ashrrev_i32_e32 v139, 8, v130
	;;#ASMSTART
	v_cvt_off_f32_i4 v140, v131
	;;#ASMEND
	;;#ASMSTART
	v_cvt_off_f32_i4 v141, v129
	;;#ASMEND
	;; [unrolled: 3-line block ×4, first 2 shown]
	v_ashrrev_i32_e32 v129, 24, v130
	v_ashrrev_i32_e32 v131, 4, v130
	;; [unrolled: 1-line block ×5, first 2 shown]
	;;#ASMSTART
	v_cvt_off_f32_i4 v139, v139
	;;#ASMEND
	;;#ASMSTART
	v_cvt_off_f32_i4 v145, v129
	;;#ASMEND
	;; [unrolled: 3-line block ×6, first 2 shown]
	ds_load_b64 v[129:130], v179 offset:16384
	s_wait_dscnt 0x0
	;;#ASMSTART
	v_cvt_off_f32_i4 v149, v129
	;;#ASMEND
	v_ashrrev_i32_e32 v131, 16, v129
	v_ashrrev_i32_e32 v132, 8, v129
	;; [unrolled: 1-line block ×4, first 2 shown]
	;;#ASMSTART
	v_cvt_off_f32_i4 v152, v131
	;;#ASMEND
	v_ashrrev_i32_e32 v131, 20, v129
	;;#ASMSTART
	v_cvt_off_f32_i4 v154, v132
	;;#ASMEND
	;;#ASMSTART
	v_cvt_off_f32_i4 v150, v150
	;;#ASMEND
	;; [unrolled: 3-line block ×3, first 2 shown]
	v_ashrrev_i32_e32 v132, 12, v129
	v_ashrrev_i32_e32 v129, 28, v129
	;;#ASMSTART
	v_cvt_off_f32_i4 v155, v131
	;;#ASMEND
	v_ashrrev_i32_e32 v131, 16, v130
	v_ashrrev_i32_e32 v156, 8, v130
	;;#ASMSTART
	v_cvt_off_f32_i4 v157, v132
	;;#ASMEND
	;;#ASMSTART
	v_cvt_off_f32_i4 v158, v129
	;;#ASMEND
	;; [unrolled: 3-line block ×4, first 2 shown]
	v_ashrrev_i32_e32 v129, 24, v130
	v_ashrrev_i32_e32 v131, 4, v130
	;; [unrolled: 1-line block ×5, first 2 shown]
	;;#ASMSTART
	v_cvt_off_f32_i4 v156, v156
	;;#ASMEND
	;;#ASMSTART
	v_cvt_off_f32_i4 v162, v129
	;;#ASMEND
	;; [unrolled: 3-line block ×6, first 2 shown]
	ds_load_b64 v[129:130], v177 offset:16384
	s_wait_dscnt 0x0
	;;#ASMSTART
	v_cvt_off_f32_i4 v166, v129
	;;#ASMEND
	v_ashrrev_i32_e32 v131, 16, v129
	v_ashrrev_i32_e32 v132, 8, v129
	;; [unrolled: 1-line block ×4, first 2 shown]
	;;#ASMSTART
	v_cvt_off_f32_i4 v177, v131
	;;#ASMEND
	v_ashrrev_i32_e32 v131, 20, v129
	;;#ASMSTART
	v_cvt_off_f32_i4 v178, v132
	;;#ASMEND
	;;#ASMSTART
	v_cvt_off_f32_i4 v167, v167
	;;#ASMEND
	;; [unrolled: 3-line block ×3, first 2 shown]
	v_ashrrev_i32_e32 v132, 12, v129
	v_ashrrev_i32_e32 v129, 28, v129
	;;#ASMSTART
	v_cvt_off_f32_i4 v179, v131
	;;#ASMEND
	v_ashrrev_i32_e32 v131, 16, v130
	v_ashrrev_i32_e32 v180, 8, v130
	;;#ASMSTART
	v_cvt_off_f32_i4 v181, v132
	;;#ASMEND
	;;#ASMSTART
	v_cvt_off_f32_i4 v182, v129
	;;#ASMEND
	;; [unrolled: 3-line block ×4, first 2 shown]
	v_ashrrev_i32_e32 v129, 24, v130
	v_ashrrev_i32_e32 v131, 4, v130
	;; [unrolled: 1-line block ×5, first 2 shown]
	;;#ASMSTART
	v_cvt_off_f32_i4 v180, v180
	;;#ASMEND
	;;#ASMSTART
	v_cvt_off_f32_i4 v186, v129
	;;#ASMEND
	;; [unrolled: 3-line block ×6, first 2 shown]
	ds_load_b64 v[129:130], v176 offset:16384
	v_dual_mov_b32 v131, 0 :: v_dual_mov_b32 v132, 0
	s_wait_dscnt 0x0
	;;#ASMSTART
	v_cvt_off_f32_i4 v176, v129
	;;#ASMEND
	s_delay_alu instid0(VALU_DEP_1) | instskip(NEXT) | instid1(VALU_DEP_2)
	v_cvt_pk_fp8_f32 v131, v133, v137
	v_cvt_pk_fp8_f32 v132, v138, v134
	v_dual_mov_b32 v134, 0 :: v_dual_mov_b32 v133, 0
	s_delay_alu instid0(VALU_DEP_3) | instskip(NEXT) | instid1(VALU_DEP_3)
	v_cvt_pk_fp8_f32 v131, v135, v136 op_sel:[0,0,1]
	v_cvt_pk_fp8_f32 v132, v140, v141 op_sel:[0,0,1]
	s_delay_alu instid0(VALU_DEP_3) | instskip(NEXT) | instid1(VALU_DEP_4)
	v_cvt_pk_fp8_f32 v134, v139, v145
	v_cvt_pk_fp8_f32 v133, v142, v143
	v_dual_mov_b32 v139, 0 :: v_dual_mov_b32 v140, 0
	v_mov_b32_e32 v145, 0
	s_delay_alu instid0(VALU_DEP_4) | instskip(NEXT) | instid1(VALU_DEP_4)
	v_cvt_pk_fp8_f32 v134, v144, v148 op_sel:[0,0,1]
	v_cvt_pk_fp8_f32 v133, v146, v147 op_sel:[0,0,1]
	v_ashrrev_i32_e32 v135, 16, v129
	v_ashrrev_i32_e32 v136, 8, v129
	;; [unrolled: 1-line block ×3, first 2 shown]
	;;#ASMSTART
	v_cvt_off_f32_i4 v190, v135
	;;#ASMEND
	v_ashrrev_i32_e32 v135, 20, v129
	v_ashrrev_i32_e32 v138, 4, v129
	;;#ASMSTART
	v_cvt_off_f32_i4 v191, v136
	;;#ASMEND
	;;#ASMSTART
	v_cvt_off_f32_i4 v192, v137
	;;#ASMEND
	;; [unrolled: 3-line block ×3, first 2 shown]
	v_ashrrev_i32_e32 v136, 12, v129
	v_ashrrev_i32_e32 v129, 28, v129
	;;#ASMSTART
	v_cvt_off_f32_i4 v194, v135
	;;#ASMEND
	v_ashrrev_i32_e32 v135, 16, v130
	v_ashrrev_i32_e32 v137, 8, v130
	;;#ASMSTART
	v_cvt_off_f32_i4 v195, v136
	;;#ASMEND
	;;#ASMSTART
	v_cvt_off_f32_i4 v196, v129
	;;#ASMEND
	;; [unrolled: 3-line block ×5, first 2 shown]
	v_ashrrev_i32_e32 v129, 24, v130
	v_ashrrev_i32_e32 v135, 4, v130
	;; [unrolled: 1-line block ×5, first 2 shown]
	;;#ASMSTART
	v_cvt_off_f32_i4 v200, v129
	;;#ASMEND
	;;#ASMSTART
	v_cvt_off_f32_i4 v201, v135
	;;#ASMEND
	;; [unrolled: 3-line block ×5, first 2 shown]
	ds_load_b64 v[129:130], v175 offset:16384
	v_dual_mov_b32 v135, 0 :: v_dual_mov_b32 v136, 0
	v_dual_mov_b32 v137, 0 :: v_dual_mov_b32 v138, 0
	v_mov_b32_e32 v146, 0
	s_delay_alu instid0(VALU_DEP_3) | instskip(NEXT) | instid1(VALU_DEP_4)
	v_cvt_pk_fp8_f32 v135, v149, v152
	v_cvt_pk_fp8_f32 v136, v154, v150
	s_delay_alu instid0(VALU_DEP_4)
	v_cvt_pk_fp8_f32 v137, v159, v160
	v_cvt_pk_fp8_f32 v138, v156, v162
	s_wait_dscnt 0x0
	;;#ASMSTART
	v_cvt_off_f32_i4 v149, v129
	;;#ASMEND
	v_cvt_pk_fp8_f32 v135, v151, v155 op_sel:[0,0,1]
	v_cvt_pk_fp8_f32 v136, v157, v158 op_sel:[0,0,1]
	;; [unrolled: 1-line block ×4, first 2 shown]
	v_cvt_pk_fp8_f32 v139, v166, v177
	v_mov_b32_e32 v147, 0
	v_cvt_pk_fp8_f32 v140, v178, v167
	v_cvt_pk_fp8_f32 v146, v199, v200
	v_ashrrev_i32_e32 v141, 16, v129
	v_ashrrev_i32_e32 v142, 8, v129
	;; [unrolled: 1-line block ×3, first 2 shown]
	;;#ASMSTART
	v_cvt_off_f32_i4 v150, v141
	;;#ASMEND
	v_ashrrev_i32_e32 v141, 20, v129
	v_ashrrev_i32_e32 v144, 4, v129
	;;#ASMSTART
	v_cvt_off_f32_i4 v151, v142
	;;#ASMEND
	;;#ASMSTART
	v_cvt_off_f32_i4 v152, v143
	;;#ASMEND
	;; [unrolled: 3-line block ×3, first 2 shown]
	v_ashrrev_i32_e32 v142, 12, v129
	v_ashrrev_i32_e32 v129, 28, v129
	;;#ASMSTART
	v_cvt_off_f32_i4 v155, v141
	;;#ASMEND
	v_ashrrev_i32_e32 v141, 16, v130
	v_ashrrev_i32_e32 v143, 8, v130
	;;#ASMSTART
	v_cvt_off_f32_i4 v156, v142
	;;#ASMEND
	;;#ASMSTART
	v_cvt_off_f32_i4 v157, v129
	;;#ASMEND
	;; [unrolled: 3-line block ×5, first 2 shown]
	v_ashrrev_i32_e32 v129, 24, v130
	v_ashrrev_i32_e32 v141, 4, v130
	;; [unrolled: 1-line block ×5, first 2 shown]
	;;#ASMSTART
	v_cvt_off_f32_i4 v161, v129
	;;#ASMEND
	;;#ASMSTART
	v_cvt_off_f32_i4 v162, v141
	;;#ASMEND
	;; [unrolled: 3-line block ×5, first 2 shown]
	ds_load_b64 v[129:130], v174 offset:16384
	v_dual_mov_b32 v142, 0 :: v_dual_mov_b32 v143, 0
	v_mov_b32_e32 v141, 0
	v_cvt_pk_fp8_f32 v139, v168, v179 op_sel:[0,0,1]
	s_wait_dscnt 0x0
	;;#ASMSTART
	v_cvt_off_f32_i4 v167, v129
	;;#ASMEND
	v_cvt_pk_fp8_f32 v142, v180, v186
	v_cvt_pk_fp8_f32 v147, v149, v150
	v_mov_b32_e32 v150, 0
	v_cvt_pk_fp8_f32 v143, v176, v190
	v_cvt_pk_fp8_f32 v140, v181, v182 op_sel:[0,0,1]
	v_cvt_pk_fp8_f32 v141, v183, v184
	v_cvt_pk_fp8_f32 v142, v185, v189 op_sel:[0,0,1]
	v_mov_b32_e32 v149, 0
	v_cvt_pk_fp8_f32 v147, v154, v155 op_sel:[0,0,1]
	v_dual_mov_b32 v154, 0 :: v_dual_mov_b32 v155, 0
	v_mov_b32_e32 v144, 0
	s_delay_alu instid0(VALU_DEP_4)
	v_cvt_pk_fp8_f32 v149, v158, v159
	v_cvt_pk_fp8_f32 v150, v160, v161
	v_ashrrev_i32_e32 v148, 16, v129
	v_ashrrev_i32_e32 v166, 8, v129
	;; [unrolled: 1-line block ×4, first 2 shown]
	;;#ASMSTART
	v_cvt_off_f32_i4 v175, v148
	;;#ASMEND
	v_ashrrev_i32_e32 v148, 20, v129
	;;#ASMSTART
	v_cvt_off_f32_i4 v166, v166
	;;#ASMEND
	;;#ASMSTART
	v_cvt_off_f32_i4 v168, v168
	;;#ASMEND
	;; [unrolled: 3-line block ×3, first 2 shown]
	v_ashrrev_i32_e32 v176, 12, v129
	v_ashrrev_i32_e32 v129, 28, v129
	;;#ASMSTART
	v_cvt_off_f32_i4 v177, v148
	;;#ASMEND
	v_ashrrev_i32_e32 v148, 16, v130
	v_ashrrev_i32_e32 v178, 8, v130
	;;#ASMSTART
	v_cvt_off_f32_i4 v176, v176
	;;#ASMEND
	;;#ASMSTART
	v_cvt_off_f32_i4 v179, v129
	;;#ASMEND
	;; [unrolled: 3-line block ×4, first 2 shown]
	v_ashrrev_i32_e32 v129, 24, v130
	v_ashrrev_i32_e32 v148, 4, v130
	;; [unrolled: 1-line block ×5, first 2 shown]
	;;#ASMSTART
	v_cvt_off_f32_i4 v178, v178
	;;#ASMEND
	;;#ASMSTART
	v_cvt_off_f32_i4 v184, v129
	;;#ASMEND
	;; [unrolled: 3-line block ×6, first 2 shown]
	ds_load_b64 v[129:130], v173 offset:16384
	v_mov_b32_e32 v148, 0
	v_cvt_pk_fp8_f32 v149, v162, v163 op_sel:[0,0,1]
	v_cvt_pk_fp8_f32 v154, v167, v175
	v_cvt_pk_fp8_f32 v155, v166, v168
	s_wait_dscnt 0x0
	;;#ASMSTART
	v_cvt_off_f32_i4 v162, v129
	;;#ASMEND
	v_cvt_pk_fp8_f32 v148, v151, v152
	v_cvt_pk_fp8_f32 v141, v187, v188 op_sel:[0,0,1]
	v_cvt_pk_fp8_f32 v144, v191, v192
	v_cvt_pk_fp8_f32 v143, v193, v194 op_sel:[0,0,1]
	v_cvt_pk_fp8_f32 v150, v164, v165 op_sel:[0,0,1]
	;; [unrolled: 1-line block ×3, first 2 shown]
	v_dual_mov_b32 v157, 0 :: v_dual_mov_b32 v156, 0
	v_mov_b32_e32 v161, 0
	v_cvt_pk_fp8_f32 v145, v197, v198
	v_cvt_pk_fp8_f32 v144, v195, v196 op_sel:[0,0,1]
	v_cvt_pk_fp8_f32 v146, v203, v204 op_sel:[0,0,1]
	v_cvt_pk_fp8_f32 v156, v180, v181
	v_cvt_pk_fp8_f32 v154, v174, v177 op_sel:[0,0,1]
	v_ashrrev_i32_e32 v151, 16, v129
	v_ashrrev_i32_e32 v152, 8, v129
	;; [unrolled: 1-line block ×5, first 2 shown]
	;;#ASMSTART
	v_cvt_off_f32_i4 v151, v151
	;;#ASMEND
	;;#ASMSTART
	v_cvt_off_f32_i4 v152, v152
	;;#ASMEND
	;; [unrolled: 3-line block ×4, first 2 shown]
	v_ashrrev_i32_e32 v158, 12, v129
	v_ashrrev_i32_e32 v129, 28, v129
	;;#ASMSTART
	v_cvt_off_f32_i4 v167, v160
	;;#ASMEND
	v_ashrrev_i32_e32 v159, 16, v130
	v_ashrrev_i32_e32 v160, 8, v130
	;;#ASMSTART
	v_cvt_off_f32_i4 v168, v158
	;;#ASMEND
	;;#ASMSTART
	v_cvt_off_f32_i4 v173, v129
	;;#ASMEND
	;; [unrolled: 3-line block ×5, first 2 shown]
	v_ashrrev_i32_e32 v129, 24, v130
	v_ashrrev_i32_e32 v158, 4, v130
	;; [unrolled: 1-line block ×5, first 2 shown]
	;;#ASMSTART
	v_cvt_off_f32_i4 v189, v129
	;;#ASMEND
	;;#ASMSTART
	v_cvt_off_f32_i4 v190, v158
	;;#ASMEND
	;;#ASMSTART
	v_cvt_off_f32_i4 v191, v159
	;;#ASMEND
	;;#ASMSTART
	v_cvt_off_f32_i4 v192, v160
	;;#ASMEND
	;;#ASMSTART
	v_cvt_off_f32_i4 v193, v130
	;;#ASMEND
	ds_load_b64 v[129:130], v172 offset:16384
	v_dual_mov_b32 v158, 0 :: v_dual_mov_b32 v159, 0
	v_mov_b32_e32 v160, 0
	v_cvt_pk_fp8_f32 v161, v188, v189
	v_cvt_pk_fp8_f32 v145, v201, v202 op_sel:[0,0,1]
	s_delay_alu instid0(VALU_DEP_4)
	v_cvt_pk_fp8_f32 v158, v162, v151
	v_mov_b32_e32 v162, 0
	v_cvt_pk_fp8_f32 v159, v152, v163
	v_mov_b32_e32 v163, 0
	s_wait_dscnt 0x0
	;;#ASMSTART
	v_cvt_off_f32_i4 v152, v129
	;;#ASMEND
	v_cvt_pk_fp8_f32 v157, v178, v184
	v_cvt_pk_fp8_f32 v160, v175, v187
	v_cvt_pk_fp8_f32 v155, v176, v179 op_sel:[0,0,1]
	v_cvt_pk_fp8_f32 v156, v185, v182 op_sel:[0,0,1]
	;; [unrolled: 1-line block ×7, first 2 shown]
	v_ashrrev_i32_e32 v151, 16, v129
	;;#ASMSTART
	v_cvt_off_f32_i4 v151, v151
	;;#ASMEND
	s_delay_alu instid0(VALU_DEP_1)
	v_cvt_pk_fp8_f32 v162, v152, v151
	v_ashrrev_i32_e32 v164, 8, v129
	v_ashrrev_i32_e32 v165, 24, v129
	;;#ASMSTART
	v_cvt_off_f32_i4 v151, v164
	;;#ASMEND
	;;#ASMSTART
	v_cvt_off_f32_i4 v152, v165
	;;#ASMEND
	v_cvt_pk_fp8_f32 v163, v151, v152
	v_ashrrev_i32_e32 v164, 4, v129
	;;#ASMSTART
	v_cvt_off_f32_i4 v152, v164
	;;#ASMEND
	v_ashrrev_i32_e32 v165, 20, v129
	;;#ASMSTART
	v_cvt_off_f32_i4 v164, v165
	;;#ASMEND
	s_delay_alu instid0(VALU_DEP_2)
	v_cvt_pk_fp8_f32 v162, v152, v164 op_sel:[0,0,1]
	v_mov_b32_e32 v152, 0
	v_ashrrev_i32_e32 v151, 12, v129
	v_ashrrev_i32_e32 v129, 28, v129
	;;#ASMSTART
	v_cvt_off_f32_i4 v151, v151
	;;#ASMEND
	;;#ASMSTART
	v_cvt_off_f32_i4 v129, v129
	;;#ASMEND
	s_delay_alu instid0(VALU_DEP_1)
	v_cvt_pk_fp8_f32 v163, v151, v129 op_sel:[0,0,1]
	v_ashrrev_i32_e32 v129, 16, v130
	v_ashrrev_i32_e32 v151, 8, v130
	;;#ASMSTART
	v_cvt_off_f32_i4 v165, v130
	;;#ASMEND
	;;#ASMSTART
	v_cvt_off_f32_i4 v129, v129
	;;#ASMEND
	v_ashrrev_i32_e32 v164, 24, v130
	v_cvt_pk_fp8_f32 v152, v165, v129
	;;#ASMSTART
	v_cvt_off_f32_i4 v129, v151
	;;#ASMEND
	;;#ASMSTART
	v_cvt_off_f32_i4 v151, v164
	;;#ASMEND
	v_cvt_pk_fp8_f32 v153, v129, v151
	v_ashrrev_i32_e32 v164, 4, v130
	v_ashrrev_i32_e32 v165, 20, v130
	;; [unrolled: 1-line block ×4, first 2 shown]
	;;#ASMSTART
	v_cvt_off_f32_i4 v151, v164
	;;#ASMEND
	;;#ASMSTART
	v_cvt_off_f32_i4 v164, v165
	;;#ASMEND
	v_cvt_pk_fp8_f32 v152, v151, v164 op_sel:[0,0,1]
	;;#ASMSTART
	v_cvt_off_f32_i4 v129, v129
	;;#ASMEND
	;;#ASMSTART
	v_cvt_off_f32_i4 v130, v130
	;;#ASMEND
	v_cvt_pk_fp8_f32 v153, v129, v130 op_sel:[0,0,1]
	; sched_barrier mask(0x00000000)
	s_barrier_signal -1
	s_barrier_wait -1
	; sched_barrier mask(0x00000000)
	v_wmma_f32_16x16x16_fp8_fp8 v[57:64], v[131:132], v[121:122], v[57:64]
	s_delay_alu instid0(VALU_DEP_1)
	v_wmma_f32_16x16x16_fp8_fp8 v[57:64], v[133:134], v[123:124], v[57:64]
	; sched_barrier mask(0x00000000)
	s_setprio 1
	; sched_barrier mask(0x00000000)
	v_wmma_f32_16x16x16_fp8_fp8 v[49:56], v[147:148], v[121:122], v[49:56]
	v_wmma_f32_16x16x16_fp8_fp8 v[33:40], v[131:132], v[117:118], v[33:40]
	;; [unrolled: 1-line block ×60, first 2 shown]
	; sched_barrier mask(0x00000000)
	s_wait_dscnt 0x0
	s_barrier_signal -1
	s_barrier_wait -1
	; sched_barrier mask(0x00000000)
	v_wmma_f32_16x16x16_fp8_fp8 v[1:8], v[162:163], v[65:66], v[1:8]
	s_delay_alu instid0(VALU_DEP_1)
	v_wmma_f32_16x16x16_fp8_fp8 v[1:8], v[152:153], v[67:68], v[1:8]
	; sched_barrier mask(0x00000000)
	s_setprio 0
	; sched_barrier mask(0x00000000)
	v_lshlrev_b32_e32 v0, 3, v0
	v_and_b32_e32 v65, 56, v169
	v_lshl_or_b32 v66, s19, 7, v170
	v_cvt_f16_f32_e32 v69, v60
	v_cvt_f16_f32_e32 v63, v63
	v_and_b32_e32 v68, 56, v0
	v_lshlrev_b32_e32 v60, 1, v65
	v_cvt_f16_f32_e32 v64, v64
	v_cvt_f16_f32_e32 v67, v59
	;; [unrolled: 1-line block ×3, first 2 shown]
	v_or_b32_e32 v0, s6, v68
	v_cvt_f16_f32_e32 v65, v62
	v_cvt_f16_f32_e32 v57, v57
	v_lshl_or_b32 v70, v171, 7, v60
	v_pack_b32_f16 v60, v63, v64
	v_mad_co_u64_u32 v[61:62], null, v66, s17, v[0:1]
	v_cvt_f16_f32_e32 v62, v58
	v_lshlrev_b32_e32 v63, 1, v68
	v_pack_b32_f16 v59, v59, v65
	v_pack_b32_f16 v58, v67, v69
	s_wait_dscnt 0x0
	v_pack_b32_f16 v57, v57, v62
	v_lshl_or_b32 v62, v170, 7, v63
	s_barrier_signal -1
	s_barrier_wait -1
	v_cmp_gt_i32_e32 vcc_lo, s5, v0
	ds_store_b128 v70, v[57:60]
	s_wait_dscnt 0x0
	s_barrier_signal -1
	s_barrier_wait -1
	ds_load_b128 v[57:60], v62
	v_cmp_gt_i32_e64 s3, s4, v66
	v_or_b32_e32 v63, 4, v0
	v_lshlrev_b32_e32 v64, 1, v61
	s_add_co_i32 s1, s5, s1
	s_and_b32 s9, s9, 0xffff
	s_and_b32 s0, s3, vcc_lo
	s_lshl_b32 s10, s1, 1
	v_cndmask_b32_e64 v65, 0x80000000, 0, s0
	v_cmp_gt_i32_e64 s0, s5, v63
	s_mov_b32 s11, 0x31004000
	v_cvt_f16_f32_e32 v49, v49
	v_cvt_f16_f32_e32 v54, v54
	v_add_nc_u32_e32 v63, v65, v64
	s_and_b32 s1, s3, s0
	v_cvt_f16_f32_e32 v41, v41
	s_wait_alu 0xfffe
	v_cndmask_b32_e64 v65, 0x80000000, 0, s1
	v_cvt_f16_f32_e32 v46, v46
	v_cvt_f16_f32_e32 v33, v33
	;; [unrolled: 1-line block ×3, first 2 shown]
	s_wait_dscnt 0x0
	buffer_store_b64 v[57:58], v63, s[8:11], null offen
	v_cvt_f16_f32_e32 v58, v51
	v_cvt_f16_f32_e32 v51, v53
	;; [unrolled: 1-line block ×6, first 2 shown]
	v_add_nc_u32_e32 v57, v64, v65
	v_pack_b32_f16 v51, v51, v54
	v_pack_b32_f16 v52, v53, v55
	;; [unrolled: 1-line block ×4, first 2 shown]
	v_or_b32_e32 v53, 64, v0
	buffer_store_b64 v[59:60], v57, s[8:11], null offen offset:8
	s_wait_dscnt 0x0
	s_barrier_signal -1
	s_barrier_wait -1
	ds_store_b128 v70, v[49:52]
	s_wait_dscnt 0x0
	s_barrier_signal -1
	s_barrier_wait -1
	ds_load_b128 v[49:52], v62
	v_cmp_gt_i32_e64 s1, s5, v53
	v_or_b32_e32 v0, 0x44, v0
	v_add_nc_u32_e32 v53, 64, v61
	v_cvt_f16_f32_e32 v25, v25
	v_cvt_f16_f32_e32 v30, v30
	s_and_b32 s2, s3, s1
	v_cvt_f16_f32_e32 v17, v17
	v_cndmask_b32_e64 v54, 0x80000000, 0, s2
	v_cmp_gt_i32_e64 s2, s5, v0
	s_lshl_b32 s5, s17, 5
	v_cvt_f16_f32_e32 v22, v22
	v_cvt_f16_f32_e32 v5, v5
	v_lshl_add_u32 v0, v53, 1, v54
	s_and_b32 s3, s3, s2
	v_cvt_f16_f32_e32 v6, v6
	s_wait_alu 0xfffe
	v_cndmask_b32_e64 v54, 0x80000000, 0, s3
	v_cvt_f16_f32_e32 v4, v4
	v_cvt_f16_f32_e32 v10, v10
	s_wait_dscnt 0x0
	buffer_store_b64 v[49:50], v0, s[8:11], null offen
	v_cvt_f16_f32_e32 v49, v43
	v_cvt_f16_f32_e32 v43, v45
	v_cvt_f16_f32_e32 v45, v47
	v_cvt_f16_f32_e32 v47, v48
	v_cvt_f16_f32_e32 v48, v44
	v_cvt_f16_f32_e32 v50, v42
	v_add_nc_u32_e32 v0, v64, v54
	v_pack_b32_f16 v43, v43, v46
	v_pack_b32_f16 v44, v45, v47
	;; [unrolled: 1-line block ×4, first 2 shown]
	buffer_store_b64 v[51:52], v0, s[8:11], null offen offset:136
	v_or_b32_e32 v0, 32, v66
	s_wait_dscnt 0x0
	s_barrier_signal -1
	s_barrier_wait -1
	ds_store_b128 v70, v[41:44]
	s_wait_dscnt 0x0
	s_barrier_signal -1
	s_barrier_wait -1
	ds_load_b128 v[41:44], v62
	v_cmp_gt_i32_e64 s3, s4, v0
	v_add_lshl_u32 v0, v53, s5, 1
	s_and_b32 s6, s3, s1
	s_wait_alu 0xfffe
	v_cndmask_b32_e64 v45, 0x80000000, 0, s6
	s_and_b32 s6, s3, s2
	s_delay_alu instid0(VALU_DEP_1)
	v_add_nc_u32_e32 v45, v0, v45
	s_wait_dscnt 0x0
	buffer_store_b64 v[41:42], v45, s[8:11], null offen
	v_cndmask_b32_e64 v41, 0x80000008, 8, s6
	v_cvt_f16_f32_e32 v42, v35
	v_cvt_f16_f32_e32 v35, v37
	;; [unrolled: 1-line block ×6, first 2 shown]
	v_add_nc_u32_e32 v0, v0, v41
	v_pack_b32_f16 v35, v35, v38
	v_pack_b32_f16 v36, v37, v39
	;; [unrolled: 1-line block ×4, first 2 shown]
	buffer_store_b64 v[43:44], v0, s[8:11], null offen
	s_wait_dscnt 0x0
	s_barrier_signal -1
	s_barrier_wait -1
	ds_store_b128 v70, v[33:36]
	s_wait_dscnt 0x0
	s_barrier_signal -1
	s_barrier_wait -1
	ds_load_b128 v[33:36], v62
	v_add_nc_u32_e32 v0, s5, v61
	s_and_b32 s6, vcc_lo, s3
	s_and_b32 s3, s3, s0
	s_wait_alu 0xfffe
	v_cndmask_b32_e64 v38, 0x80000000, 0, s6
	v_cndmask_b32_e64 v39, 0x80000000, 0, s3
	v_lshlrev_b32_e32 v37, 1, v0
	s_delay_alu instid0(VALU_DEP_1)
	v_add_nc_u32_e32 v38, v38, v37
	s_wait_dscnt 0x0
	buffer_store_b64 v[33:34], v38, s[8:11], null offen
	v_add_nc_u32_e32 v33, v37, v39
	v_cvt_f16_f32_e32 v34, v27
	v_cvt_f16_f32_e32 v27, v29
	;; [unrolled: 1-line block ×6, first 2 shown]
	v_pack_b32_f16 v27, v27, v30
	buffer_store_b64 v[35:36], v33, s[8:11], null offen offset:8
	v_pack_b32_f16 v28, v29, v31
	v_pack_b32_f16 v26, v34, v32
	v_pack_b32_f16 v25, v25, v37
	v_or_b32_e32 v29, 64, v66
	s_wait_dscnt 0x0
	s_barrier_signal -1
	s_barrier_wait -1
	ds_store_b128 v70, v[25:28]
	s_wait_dscnt 0x0
	s_barrier_signal -1
	s_barrier_wait -1
	ds_load_b128 v[25:28], v62
	v_cmp_gt_i32_e64 s3, s4, v29
	v_add_nc_u32_e32 v30, s5, v0
	s_and_b32 s6, vcc_lo, s3
	s_delay_alu instid0(VALU_DEP_1) | instskip(SKIP_3) | instid1(VALU_DEP_1)
	v_lshlrev_b32_e32 v0, 1, v30
	s_wait_alu 0xfffe
	v_cndmask_b32_e64 v29, 0x80000000, 0, s6
	s_and_b32 s6, s3, s0
	v_add_nc_u32_e32 v29, v0, v29
	s_wait_dscnt 0x0
	buffer_store_b64 v[25:26], v29, s[8:11], null offen
	v_cndmask_b32_e64 v25, 0x80000008, 8, s6
	v_cvt_f16_f32_e32 v26, v19
	v_cvt_f16_f32_e32 v19, v21
	;; [unrolled: 1-line block ×6, first 2 shown]
	v_add_nc_u32_e32 v25, v0, v25
	v_pack_b32_f16 v19, v19, v22
	v_pack_b32_f16 v20, v21, v23
	v_pack_b32_f16 v18, v26, v24
	v_pack_b32_f16 v17, v17, v29
	buffer_store_b64 v[27:28], v25, s[8:11], null offen
	s_wait_dscnt 0x0
	s_barrier_signal -1
	s_barrier_wait -1
	ds_store_b128 v70, v[17:20]
	s_wait_dscnt 0x0
	s_barrier_signal -1
	s_barrier_wait -1
	ds_load_b128 v[17:20], v62
	s_and_b32 s6, s3, s1
	v_add_nc_u32_e32 v21, 64, v30
	s_wait_alu 0xfffe
	v_cndmask_b32_e64 v22, 0x80000000, 0, s6
	v_mov_b32_e32 v23, 0x88
	s_and_b32 s3, s3, s2
	s_delay_alu instid0(VALU_DEP_2) | instskip(SKIP_1) | instid1(VALU_DEP_2)
	v_lshl_add_u32 v22, v21, 1, v22
	s_wait_alu 0xfffe
	v_cndmask_b32_e64 v23, 0x80000088, v23, s3
	s_delay_alu instid0(VALU_DEP_1)
	v_add_nc_u32_e32 v0, v0, v23
	s_wait_dscnt 0x0
	buffer_store_b64 v[17:18], v22, s[8:11], null offen
	v_cvt_f16_f32_e32 v17, v1
	v_cvt_f16_f32_e32 v1, v3
	v_cvt_f16_f32_e32 v3, v7
	v_cvt_f16_f32_e32 v7, v8
	v_cvt_f16_f32_e32 v8, v2
	buffer_store_b64 v[19:20], v0, s[8:11], null offen
	v_pack_b32_f16 v2, v5, v6
	v_pack_b32_f16 v1, v1, v4
	;; [unrolled: 1-line block ×4, first 2 shown]
	v_or_b32_e32 v4, 0x60, v66
	s_wait_dscnt 0x0
	s_barrier_signal -1
	s_barrier_wait -1
	ds_store_b128 v70, v[0:3]
	s_wait_dscnt 0x0
	s_barrier_signal -1
	s_barrier_wait -1
	ds_load_b128 v[0:3], v62
	v_cmp_gt_i32_e64 s3, s4, v4
	v_add_lshl_u32 v4, v21, s5, 1
	v_cvt_f16_f32_e32 v6, v13
	v_cvt_f16_f32_e32 v7, v15
	;; [unrolled: 1-line block ×3, first 2 shown]
	s_and_b32 s1, s3, s1
	s_and_b32 s0, s3, s0
	s_wait_alu 0xfffe
	v_cndmask_b32_e64 v5, 0x80000000, 0, s1
	s_and_b32 s1, s3, s2
	v_pack_b32_f16 v7, v7, v8
	s_delay_alu instid0(VALU_DEP_2)
	v_add_nc_u32_e32 v5, v4, v5
	s_wait_dscnt 0x0
	buffer_store_b64 v[0:1], v5, s[8:11], null offen
	v_cndmask_b32_e64 v0, 0x80000008, 8, s1
	v_cvt_f16_f32_e32 v1, v9
	v_cvt_f16_f32_e32 v5, v11
	;; [unrolled: 1-line block ×4, first 2 shown]
	v_add_nc_u32_e32 v0, v4, v0
	v_pack_b32_f16 v4, v1, v10
	s_and_b32 s1, vcc_lo, s3
	v_pack_b32_f16 v6, v6, v9
	v_pack_b32_f16 v5, v5, v11
	buffer_store_b64 v[2:3], v0, s[8:11], null offen
	s_wait_dscnt 0x0
	s_barrier_signal -1
	s_barrier_wait -1
	ds_store_b128 v70, v[4:7]
	s_wait_dscnt 0x0
	s_barrier_signal -1
	s_barrier_wait -1
	ds_load_b128 v[0:3], v62
	v_add_lshl_u32 v4, v30, s5, 1
	v_cndmask_b32_e64 v5, 0x80000000, 0, s1
	v_cndmask_b32_e64 v6, 0x80000008, 8, s0
	s_delay_alu instid0(VALU_DEP_2) | instskip(NEXT) | instid1(VALU_DEP_2)
	v_add_nc_u32_e32 v5, v4, v5
	v_add_nc_u32_e32 v4, v4, v6
	s_wait_dscnt 0x0
	s_clause 0x1
	buffer_store_b64 v[0:1], v5, s[8:11], null offen
	buffer_store_b64 v[2:3], v4, s[8:11], null offen
	s_nop 0
	s_sendmsg sendmsg(MSG_DEALLOC_VGPRS)
	s_endpgm
	.section	.rodata,"a",@progbits
	.p2align	6, 0x0
	.amdhsa_kernel _ZN2ck27kernel_gemm_xdl_cshuffle_v3INS_28GridwiseGemm_xdl_cshuffle_v3INS_13tensor_layout4gemm8RowMajorENS3_11ColumnMajorES4_NS_9f8_fnuz_tENS_7pk_i4_tEfDF16_DF16_NS_16tensor_operation12element_wise11PassThroughESA_SA_LNS8_6device18GemmSpecializationE0ELi256ELi128ELi128ELi128ELi16ELi16ELi16ELi16ELi4ELi2ENS_8SequenceIJLi8ELi32ELi1EEEENSD_IJLi1ELi0ELi2EEEESF_Li2ELi16ELi16ELb0ELi0ENSD_IJLi4ELi64ELi1EEEESF_SF_Li2ELi16ELi16ELb0ELi0ELi1ELi1ENSD_IJLi1ELi32ELi1ELi8EEEELi4ELNS_26BlockGemmPipelineSchedulerE1ELNS_24BlockGemmPipelineVersionE1ES6_S6_Lb0ELb1ELb0ELi0ELb0EEELb1ELNS_25InMemoryDataOperationEnumE0ELi2ELNS_10TailNumberE10EEEvNT_8ArgumentE
		.amdhsa_group_segment_fixed_size 24576
		.amdhsa_private_segment_fixed_size 0
		.amdhsa_kernarg_size 112
		.amdhsa_user_sgpr_count 2
		.amdhsa_user_sgpr_dispatch_ptr 0
		.amdhsa_user_sgpr_queue_ptr 0
		.amdhsa_user_sgpr_kernarg_segment_ptr 1
		.amdhsa_user_sgpr_dispatch_id 0
		.amdhsa_user_sgpr_private_segment_size 0
		.amdhsa_wavefront_size32 1
		.amdhsa_uses_dynamic_stack 0
		.amdhsa_enable_private_segment 0
		.amdhsa_system_sgpr_workgroup_id_x 1
		.amdhsa_system_sgpr_workgroup_id_y 0
		.amdhsa_system_sgpr_workgroup_id_z 1
		.amdhsa_system_sgpr_workgroup_info 0
		.amdhsa_system_vgpr_workitem_id 0
		.amdhsa_next_free_vgpr 245
		.amdhsa_next_free_sgpr 30
		.amdhsa_reserve_vcc 1
		.amdhsa_float_round_mode_32 0
		.amdhsa_float_round_mode_16_64 0
		.amdhsa_float_denorm_mode_32 3
		.amdhsa_float_denorm_mode_16_64 3
		.amdhsa_fp16_overflow 0
		.amdhsa_workgroup_processor_mode 1
		.amdhsa_memory_ordered 1
		.amdhsa_forward_progress 1
		.amdhsa_inst_pref_size 104
		.amdhsa_round_robin_scheduling 0
		.amdhsa_exception_fp_ieee_invalid_op 0
		.amdhsa_exception_fp_denorm_src 0
		.amdhsa_exception_fp_ieee_div_zero 0
		.amdhsa_exception_fp_ieee_overflow 0
		.amdhsa_exception_fp_ieee_underflow 0
		.amdhsa_exception_fp_ieee_inexact 0
		.amdhsa_exception_int_div_zero 0
	.end_amdhsa_kernel
	.section	.text._ZN2ck27kernel_gemm_xdl_cshuffle_v3INS_28GridwiseGemm_xdl_cshuffle_v3INS_13tensor_layout4gemm8RowMajorENS3_11ColumnMajorES4_NS_9f8_fnuz_tENS_7pk_i4_tEfDF16_DF16_NS_16tensor_operation12element_wise11PassThroughESA_SA_LNS8_6device18GemmSpecializationE0ELi256ELi128ELi128ELi128ELi16ELi16ELi16ELi16ELi4ELi2ENS_8SequenceIJLi8ELi32ELi1EEEENSD_IJLi1ELi0ELi2EEEESF_Li2ELi16ELi16ELb0ELi0ENSD_IJLi4ELi64ELi1EEEESF_SF_Li2ELi16ELi16ELb0ELi0ELi1ELi1ENSD_IJLi1ELi32ELi1ELi8EEEELi4ELNS_26BlockGemmPipelineSchedulerE1ELNS_24BlockGemmPipelineVersionE1ES6_S6_Lb0ELb1ELb0ELi0ELb0EEELb1ELNS_25InMemoryDataOperationEnumE0ELi2ELNS_10TailNumberE10EEEvNT_8ArgumentE,"axG",@progbits,_ZN2ck27kernel_gemm_xdl_cshuffle_v3INS_28GridwiseGemm_xdl_cshuffle_v3INS_13tensor_layout4gemm8RowMajorENS3_11ColumnMajorES4_NS_9f8_fnuz_tENS_7pk_i4_tEfDF16_DF16_NS_16tensor_operation12element_wise11PassThroughESA_SA_LNS8_6device18GemmSpecializationE0ELi256ELi128ELi128ELi128ELi16ELi16ELi16ELi16ELi4ELi2ENS_8SequenceIJLi8ELi32ELi1EEEENSD_IJLi1ELi0ELi2EEEESF_Li2ELi16ELi16ELb0ELi0ENSD_IJLi4ELi64ELi1EEEESF_SF_Li2ELi16ELi16ELb0ELi0ELi1ELi1ENSD_IJLi1ELi32ELi1ELi8EEEELi4ELNS_26BlockGemmPipelineSchedulerE1ELNS_24BlockGemmPipelineVersionE1ES6_S6_Lb0ELb1ELb0ELi0ELb0EEELb1ELNS_25InMemoryDataOperationEnumE0ELi2ELNS_10TailNumberE10EEEvNT_8ArgumentE,comdat
.Lfunc_end8:
	.size	_ZN2ck27kernel_gemm_xdl_cshuffle_v3INS_28GridwiseGemm_xdl_cshuffle_v3INS_13tensor_layout4gemm8RowMajorENS3_11ColumnMajorES4_NS_9f8_fnuz_tENS_7pk_i4_tEfDF16_DF16_NS_16tensor_operation12element_wise11PassThroughESA_SA_LNS8_6device18GemmSpecializationE0ELi256ELi128ELi128ELi128ELi16ELi16ELi16ELi16ELi4ELi2ENS_8SequenceIJLi8ELi32ELi1EEEENSD_IJLi1ELi0ELi2EEEESF_Li2ELi16ELi16ELb0ELi0ENSD_IJLi4ELi64ELi1EEEESF_SF_Li2ELi16ELi16ELb0ELi0ELi1ELi1ENSD_IJLi1ELi32ELi1ELi8EEEELi4ELNS_26BlockGemmPipelineSchedulerE1ELNS_24BlockGemmPipelineVersionE1ES6_S6_Lb0ELb1ELb0ELi0ELb0EEELb1ELNS_25InMemoryDataOperationEnumE0ELi2ELNS_10TailNumberE10EEEvNT_8ArgumentE, .Lfunc_end8-_ZN2ck27kernel_gemm_xdl_cshuffle_v3INS_28GridwiseGemm_xdl_cshuffle_v3INS_13tensor_layout4gemm8RowMajorENS3_11ColumnMajorES4_NS_9f8_fnuz_tENS_7pk_i4_tEfDF16_DF16_NS_16tensor_operation12element_wise11PassThroughESA_SA_LNS8_6device18GemmSpecializationE0ELi256ELi128ELi128ELi128ELi16ELi16ELi16ELi16ELi4ELi2ENS_8SequenceIJLi8ELi32ELi1EEEENSD_IJLi1ELi0ELi2EEEESF_Li2ELi16ELi16ELb0ELi0ENSD_IJLi4ELi64ELi1EEEESF_SF_Li2ELi16ELi16ELb0ELi0ELi1ELi1ENSD_IJLi1ELi32ELi1ELi8EEEELi4ELNS_26BlockGemmPipelineSchedulerE1ELNS_24BlockGemmPipelineVersionE1ES6_S6_Lb0ELb1ELb0ELi0ELb0EEELb1ELNS_25InMemoryDataOperationEnumE0ELi2ELNS_10TailNumberE10EEEvNT_8ArgumentE
                                        ; -- End function
	.set _ZN2ck27kernel_gemm_xdl_cshuffle_v3INS_28GridwiseGemm_xdl_cshuffle_v3INS_13tensor_layout4gemm8RowMajorENS3_11ColumnMajorES4_NS_9f8_fnuz_tENS_7pk_i4_tEfDF16_DF16_NS_16tensor_operation12element_wise11PassThroughESA_SA_LNS8_6device18GemmSpecializationE0ELi256ELi128ELi128ELi128ELi16ELi16ELi16ELi16ELi4ELi2ENS_8SequenceIJLi8ELi32ELi1EEEENSD_IJLi1ELi0ELi2EEEESF_Li2ELi16ELi16ELb0ELi0ENSD_IJLi4ELi64ELi1EEEESF_SF_Li2ELi16ELi16ELb0ELi0ELi1ELi1ENSD_IJLi1ELi32ELi1ELi8EEEELi4ELNS_26BlockGemmPipelineSchedulerE1ELNS_24BlockGemmPipelineVersionE1ES6_S6_Lb0ELb1ELb0ELi0ELb0EEELb1ELNS_25InMemoryDataOperationEnumE0ELi2ELNS_10TailNumberE10EEEvNT_8ArgumentE.num_vgpr, 245
	.set _ZN2ck27kernel_gemm_xdl_cshuffle_v3INS_28GridwiseGemm_xdl_cshuffle_v3INS_13tensor_layout4gemm8RowMajorENS3_11ColumnMajorES4_NS_9f8_fnuz_tENS_7pk_i4_tEfDF16_DF16_NS_16tensor_operation12element_wise11PassThroughESA_SA_LNS8_6device18GemmSpecializationE0ELi256ELi128ELi128ELi128ELi16ELi16ELi16ELi16ELi4ELi2ENS_8SequenceIJLi8ELi32ELi1EEEENSD_IJLi1ELi0ELi2EEEESF_Li2ELi16ELi16ELb0ELi0ENSD_IJLi4ELi64ELi1EEEESF_SF_Li2ELi16ELi16ELb0ELi0ELi1ELi1ENSD_IJLi1ELi32ELi1ELi8EEEELi4ELNS_26BlockGemmPipelineSchedulerE1ELNS_24BlockGemmPipelineVersionE1ES6_S6_Lb0ELb1ELb0ELi0ELb0EEELb1ELNS_25InMemoryDataOperationEnumE0ELi2ELNS_10TailNumberE10EEEvNT_8ArgumentE.num_agpr, 0
	.set _ZN2ck27kernel_gemm_xdl_cshuffle_v3INS_28GridwiseGemm_xdl_cshuffle_v3INS_13tensor_layout4gemm8RowMajorENS3_11ColumnMajorES4_NS_9f8_fnuz_tENS_7pk_i4_tEfDF16_DF16_NS_16tensor_operation12element_wise11PassThroughESA_SA_LNS8_6device18GemmSpecializationE0ELi256ELi128ELi128ELi128ELi16ELi16ELi16ELi16ELi4ELi2ENS_8SequenceIJLi8ELi32ELi1EEEENSD_IJLi1ELi0ELi2EEEESF_Li2ELi16ELi16ELb0ELi0ENSD_IJLi4ELi64ELi1EEEESF_SF_Li2ELi16ELi16ELb0ELi0ELi1ELi1ENSD_IJLi1ELi32ELi1ELi8EEEELi4ELNS_26BlockGemmPipelineSchedulerE1ELNS_24BlockGemmPipelineVersionE1ES6_S6_Lb0ELb1ELb0ELi0ELb0EEELb1ELNS_25InMemoryDataOperationEnumE0ELi2ELNS_10TailNumberE10EEEvNT_8ArgumentE.numbered_sgpr, 30
	.set _ZN2ck27kernel_gemm_xdl_cshuffle_v3INS_28GridwiseGemm_xdl_cshuffle_v3INS_13tensor_layout4gemm8RowMajorENS3_11ColumnMajorES4_NS_9f8_fnuz_tENS_7pk_i4_tEfDF16_DF16_NS_16tensor_operation12element_wise11PassThroughESA_SA_LNS8_6device18GemmSpecializationE0ELi256ELi128ELi128ELi128ELi16ELi16ELi16ELi16ELi4ELi2ENS_8SequenceIJLi8ELi32ELi1EEEENSD_IJLi1ELi0ELi2EEEESF_Li2ELi16ELi16ELb0ELi0ENSD_IJLi4ELi64ELi1EEEESF_SF_Li2ELi16ELi16ELb0ELi0ELi1ELi1ENSD_IJLi1ELi32ELi1ELi8EEEELi4ELNS_26BlockGemmPipelineSchedulerE1ELNS_24BlockGemmPipelineVersionE1ES6_S6_Lb0ELb1ELb0ELi0ELb0EEELb1ELNS_25InMemoryDataOperationEnumE0ELi2ELNS_10TailNumberE10EEEvNT_8ArgumentE.num_named_barrier, 0
	.set _ZN2ck27kernel_gemm_xdl_cshuffle_v3INS_28GridwiseGemm_xdl_cshuffle_v3INS_13tensor_layout4gemm8RowMajorENS3_11ColumnMajorES4_NS_9f8_fnuz_tENS_7pk_i4_tEfDF16_DF16_NS_16tensor_operation12element_wise11PassThroughESA_SA_LNS8_6device18GemmSpecializationE0ELi256ELi128ELi128ELi128ELi16ELi16ELi16ELi16ELi4ELi2ENS_8SequenceIJLi8ELi32ELi1EEEENSD_IJLi1ELi0ELi2EEEESF_Li2ELi16ELi16ELb0ELi0ENSD_IJLi4ELi64ELi1EEEESF_SF_Li2ELi16ELi16ELb0ELi0ELi1ELi1ENSD_IJLi1ELi32ELi1ELi8EEEELi4ELNS_26BlockGemmPipelineSchedulerE1ELNS_24BlockGemmPipelineVersionE1ES6_S6_Lb0ELb1ELb0ELi0ELb0EEELb1ELNS_25InMemoryDataOperationEnumE0ELi2ELNS_10TailNumberE10EEEvNT_8ArgumentE.private_seg_size, 0
	.set _ZN2ck27kernel_gemm_xdl_cshuffle_v3INS_28GridwiseGemm_xdl_cshuffle_v3INS_13tensor_layout4gemm8RowMajorENS3_11ColumnMajorES4_NS_9f8_fnuz_tENS_7pk_i4_tEfDF16_DF16_NS_16tensor_operation12element_wise11PassThroughESA_SA_LNS8_6device18GemmSpecializationE0ELi256ELi128ELi128ELi128ELi16ELi16ELi16ELi16ELi4ELi2ENS_8SequenceIJLi8ELi32ELi1EEEENSD_IJLi1ELi0ELi2EEEESF_Li2ELi16ELi16ELb0ELi0ENSD_IJLi4ELi64ELi1EEEESF_SF_Li2ELi16ELi16ELb0ELi0ELi1ELi1ENSD_IJLi1ELi32ELi1ELi8EEEELi4ELNS_26BlockGemmPipelineSchedulerE1ELNS_24BlockGemmPipelineVersionE1ES6_S6_Lb0ELb1ELb0ELi0ELb0EEELb1ELNS_25InMemoryDataOperationEnumE0ELi2ELNS_10TailNumberE10EEEvNT_8ArgumentE.uses_vcc, 1
	.set _ZN2ck27kernel_gemm_xdl_cshuffle_v3INS_28GridwiseGemm_xdl_cshuffle_v3INS_13tensor_layout4gemm8RowMajorENS3_11ColumnMajorES4_NS_9f8_fnuz_tENS_7pk_i4_tEfDF16_DF16_NS_16tensor_operation12element_wise11PassThroughESA_SA_LNS8_6device18GemmSpecializationE0ELi256ELi128ELi128ELi128ELi16ELi16ELi16ELi16ELi4ELi2ENS_8SequenceIJLi8ELi32ELi1EEEENSD_IJLi1ELi0ELi2EEEESF_Li2ELi16ELi16ELb0ELi0ENSD_IJLi4ELi64ELi1EEEESF_SF_Li2ELi16ELi16ELb0ELi0ELi1ELi1ENSD_IJLi1ELi32ELi1ELi8EEEELi4ELNS_26BlockGemmPipelineSchedulerE1ELNS_24BlockGemmPipelineVersionE1ES6_S6_Lb0ELb1ELb0ELi0ELb0EEELb1ELNS_25InMemoryDataOperationEnumE0ELi2ELNS_10TailNumberE10EEEvNT_8ArgumentE.uses_flat_scratch, 0
	.set _ZN2ck27kernel_gemm_xdl_cshuffle_v3INS_28GridwiseGemm_xdl_cshuffle_v3INS_13tensor_layout4gemm8RowMajorENS3_11ColumnMajorES4_NS_9f8_fnuz_tENS_7pk_i4_tEfDF16_DF16_NS_16tensor_operation12element_wise11PassThroughESA_SA_LNS8_6device18GemmSpecializationE0ELi256ELi128ELi128ELi128ELi16ELi16ELi16ELi16ELi4ELi2ENS_8SequenceIJLi8ELi32ELi1EEEENSD_IJLi1ELi0ELi2EEEESF_Li2ELi16ELi16ELb0ELi0ENSD_IJLi4ELi64ELi1EEEESF_SF_Li2ELi16ELi16ELb0ELi0ELi1ELi1ENSD_IJLi1ELi32ELi1ELi8EEEELi4ELNS_26BlockGemmPipelineSchedulerE1ELNS_24BlockGemmPipelineVersionE1ES6_S6_Lb0ELb1ELb0ELi0ELb0EEELb1ELNS_25InMemoryDataOperationEnumE0ELi2ELNS_10TailNumberE10EEEvNT_8ArgumentE.has_dyn_sized_stack, 0
	.set _ZN2ck27kernel_gemm_xdl_cshuffle_v3INS_28GridwiseGemm_xdl_cshuffle_v3INS_13tensor_layout4gemm8RowMajorENS3_11ColumnMajorES4_NS_9f8_fnuz_tENS_7pk_i4_tEfDF16_DF16_NS_16tensor_operation12element_wise11PassThroughESA_SA_LNS8_6device18GemmSpecializationE0ELi256ELi128ELi128ELi128ELi16ELi16ELi16ELi16ELi4ELi2ENS_8SequenceIJLi8ELi32ELi1EEEENSD_IJLi1ELi0ELi2EEEESF_Li2ELi16ELi16ELb0ELi0ENSD_IJLi4ELi64ELi1EEEESF_SF_Li2ELi16ELi16ELb0ELi0ELi1ELi1ENSD_IJLi1ELi32ELi1ELi8EEEELi4ELNS_26BlockGemmPipelineSchedulerE1ELNS_24BlockGemmPipelineVersionE1ES6_S6_Lb0ELb1ELb0ELi0ELb0EEELb1ELNS_25InMemoryDataOperationEnumE0ELi2ELNS_10TailNumberE10EEEvNT_8ArgumentE.has_recursion, 0
	.set _ZN2ck27kernel_gemm_xdl_cshuffle_v3INS_28GridwiseGemm_xdl_cshuffle_v3INS_13tensor_layout4gemm8RowMajorENS3_11ColumnMajorES4_NS_9f8_fnuz_tENS_7pk_i4_tEfDF16_DF16_NS_16tensor_operation12element_wise11PassThroughESA_SA_LNS8_6device18GemmSpecializationE0ELi256ELi128ELi128ELi128ELi16ELi16ELi16ELi16ELi4ELi2ENS_8SequenceIJLi8ELi32ELi1EEEENSD_IJLi1ELi0ELi2EEEESF_Li2ELi16ELi16ELb0ELi0ENSD_IJLi4ELi64ELi1EEEESF_SF_Li2ELi16ELi16ELb0ELi0ELi1ELi1ENSD_IJLi1ELi32ELi1ELi8EEEELi4ELNS_26BlockGemmPipelineSchedulerE1ELNS_24BlockGemmPipelineVersionE1ES6_S6_Lb0ELb1ELb0ELi0ELb0EEELb1ELNS_25InMemoryDataOperationEnumE0ELi2ELNS_10TailNumberE10EEEvNT_8ArgumentE.has_indirect_call, 0
	.section	.AMDGPU.csdata,"",@progbits
; Kernel info:
; codeLenInByte = 13300
; TotalNumSgprs: 32
; NumVgprs: 245
; ScratchSize: 0
; MemoryBound: 0
; FloatMode: 240
; IeeeMode: 1
; LDSByteSize: 24576 bytes/workgroup (compile time only)
; SGPRBlocks: 0
; VGPRBlocks: 30
; NumSGPRsForWavesPerEU: 32
; NumVGPRsForWavesPerEU: 245
; Occupancy: 5
; WaveLimiterHint : 0
; COMPUTE_PGM_RSRC2:SCRATCH_EN: 0
; COMPUTE_PGM_RSRC2:USER_SGPR: 2
; COMPUTE_PGM_RSRC2:TRAP_HANDLER: 0
; COMPUTE_PGM_RSRC2:TGID_X_EN: 1
; COMPUTE_PGM_RSRC2:TGID_Y_EN: 0
; COMPUTE_PGM_RSRC2:TGID_Z_EN: 1
; COMPUTE_PGM_RSRC2:TIDIG_COMP_CNT: 0
	.section	.AMDGPU.gpr_maximums,"",@progbits
	.set amdgpu.max_num_vgpr, 0
	.set amdgpu.max_num_agpr, 0
	.set amdgpu.max_num_sgpr, 0
	.section	.AMDGPU.csdata,"",@progbits
	.type	__hip_cuid_807864d72f0e5f0,@object ; @__hip_cuid_807864d72f0e5f0
	.section	.bss,"aw",@nobits
	.globl	__hip_cuid_807864d72f0e5f0
__hip_cuid_807864d72f0e5f0:
	.byte	0                               ; 0x0
	.size	__hip_cuid_807864d72f0e5f0, 1

	.ident	"AMD clang version 22.0.0git (https://github.com/RadeonOpenCompute/llvm-project roc-7.2.4 26084 f58b06dce1f9c15707c5f808fd002e18c2accf7e)"
	.section	".note.GNU-stack","",@progbits
	.addrsig
	.addrsig_sym __hip_cuid_807864d72f0e5f0
	.amdgpu_metadata
---
amdhsa.kernels:
  - .args:           []
    .group_segment_fixed_size: 0
    .kernarg_segment_align: 4
    .kernarg_segment_size: 0
    .language:       OpenCL C
    .language_version:
      - 2
      - 0
    .max_flat_workgroup_size: 1024
    .name:           _ZN2ckL12flush_icacheEv
    .private_segment_fixed_size: 0
    .sgpr_count:     0
    .sgpr_spill_count: 0
    .symbol:         _ZN2ckL12flush_icacheEv.kd
    .uniform_work_group_size: 1
    .uses_dynamic_stack: false
    .vgpr_count:     0
    .vgpr_spill_count: 0
    .wavefront_size: 32
    .workgroup_processor_mode: 1
  - .args:
      - .offset:         0
        .size:           112
        .value_kind:     by_value
    .group_segment_fixed_size: 0
    .kernarg_segment_align: 8
    .kernarg_segment_size: 112
    .language:       OpenCL C
    .language_version:
      - 2
      - 0
    .max_flat_workgroup_size: 256
    .name:           _ZN2ck27kernel_gemm_xdl_cshuffle_v3INS_28GridwiseGemm_xdl_cshuffle_v3INS_13tensor_layout4gemm8RowMajorENS3_11ColumnMajorES4_NS_9f8_fnuz_tENS_7pk_i4_tEfDF16_DF16_NS_16tensor_operation12element_wise11PassThroughESA_SA_LNS8_6device18GemmSpecializationE0ELi256ELi128ELi128ELi128ELi16ELi16ELi16ELi16ELi4ELi4ENS_8SequenceIJLi8ELi32ELi1EEEENSD_IJLi1ELi0ELi2EEEESF_Li2ELi16ELi16ELb0ELi0ENSD_IJLi4ELi64ELi1EEEESF_SF_Li2ELi16ELi16ELb0ELi0ELi1ELi1ENSD_IJLi1ELi32ELi1ELi8EEEELi4ELNS_26BlockGemmPipelineSchedulerE1ELNS_24BlockGemmPipelineVersionE1ES6_S6_Lb0ELb1ELb0ELi0ELb0EEELb1ELNS_25InMemoryDataOperationEnumE1ELi2ELNS_10TailNumberE2EEEvNT_8ArgumentE
    .private_segment_fixed_size: 0
    .sgpr_count:     0
    .sgpr_spill_count: 0
    .symbol:         _ZN2ck27kernel_gemm_xdl_cshuffle_v3INS_28GridwiseGemm_xdl_cshuffle_v3INS_13tensor_layout4gemm8RowMajorENS3_11ColumnMajorES4_NS_9f8_fnuz_tENS_7pk_i4_tEfDF16_DF16_NS_16tensor_operation12element_wise11PassThroughESA_SA_LNS8_6device18GemmSpecializationE0ELi256ELi128ELi128ELi128ELi16ELi16ELi16ELi16ELi4ELi4ENS_8SequenceIJLi8ELi32ELi1EEEENSD_IJLi1ELi0ELi2EEEESF_Li2ELi16ELi16ELb0ELi0ENSD_IJLi4ELi64ELi1EEEESF_SF_Li2ELi16ELi16ELb0ELi0ELi1ELi1ENSD_IJLi1ELi32ELi1ELi8EEEELi4ELNS_26BlockGemmPipelineSchedulerE1ELNS_24BlockGemmPipelineVersionE1ES6_S6_Lb0ELb1ELb0ELi0ELb0EEELb1ELNS_25InMemoryDataOperationEnumE1ELi2ELNS_10TailNumberE2EEEvNT_8ArgumentE.kd
    .uniform_work_group_size: 1
    .uses_dynamic_stack: false
    .vgpr_count:     0
    .vgpr_spill_count: 0
    .wavefront_size: 32
    .workgroup_processor_mode: 1
  - .args:
      - .offset:         0
        .size:           112
        .value_kind:     by_value
    .group_segment_fixed_size: 0
    .kernarg_segment_align: 8
    .kernarg_segment_size: 112
    .language:       OpenCL C
    .language_version:
      - 2
      - 0
    .max_flat_workgroup_size: 256
    .name:           _ZN2ck27kernel_gemm_xdl_cshuffle_v3INS_28GridwiseGemm_xdl_cshuffle_v3INS_13tensor_layout4gemm8RowMajorENS3_11ColumnMajorES4_NS_9f8_fnuz_tENS_7pk_i4_tEfDF16_DF16_NS_16tensor_operation12element_wise11PassThroughESA_SA_LNS8_6device18GemmSpecializationE0ELi256ELi128ELi128ELi128ELi16ELi16ELi16ELi16ELi4ELi4ENS_8SequenceIJLi8ELi32ELi1EEEENSD_IJLi1ELi0ELi2EEEESF_Li2ELi16ELi16ELb0ELi0ENSD_IJLi4ELi64ELi1EEEESF_SF_Li2ELi16ELi16ELb0ELi0ELi1ELi1ENSD_IJLi1ELi32ELi1ELi8EEEELi4ELNS_26BlockGemmPipelineSchedulerE1ELNS_24BlockGemmPipelineVersionE1ES6_S6_Lb0ELb1ELb0ELi0ELb0EEELb1ELNS_25InMemoryDataOperationEnumE1ELi2ELNS_10TailNumberE10EEEvNT_8ArgumentE
    .private_segment_fixed_size: 0
    .sgpr_count:     0
    .sgpr_spill_count: 0
    .symbol:         _ZN2ck27kernel_gemm_xdl_cshuffle_v3INS_28GridwiseGemm_xdl_cshuffle_v3INS_13tensor_layout4gemm8RowMajorENS3_11ColumnMajorES4_NS_9f8_fnuz_tENS_7pk_i4_tEfDF16_DF16_NS_16tensor_operation12element_wise11PassThroughESA_SA_LNS8_6device18GemmSpecializationE0ELi256ELi128ELi128ELi128ELi16ELi16ELi16ELi16ELi4ELi4ENS_8SequenceIJLi8ELi32ELi1EEEENSD_IJLi1ELi0ELi2EEEESF_Li2ELi16ELi16ELb0ELi0ENSD_IJLi4ELi64ELi1EEEESF_SF_Li2ELi16ELi16ELb0ELi0ELi1ELi1ENSD_IJLi1ELi32ELi1ELi8EEEELi4ELNS_26BlockGemmPipelineSchedulerE1ELNS_24BlockGemmPipelineVersionE1ES6_S6_Lb0ELb1ELb0ELi0ELb0EEELb1ELNS_25InMemoryDataOperationEnumE1ELi2ELNS_10TailNumberE10EEEvNT_8ArgumentE.kd
    .uniform_work_group_size: 1
    .uses_dynamic_stack: false
    .vgpr_count:     0
    .vgpr_spill_count: 0
    .wavefront_size: 32
    .workgroup_processor_mode: 1
  - .args:
      - .offset:         0
        .size:           112
        .value_kind:     by_value
    .group_segment_fixed_size: 0
    .kernarg_segment_align: 8
    .kernarg_segment_size: 112
    .language:       OpenCL C
    .language_version:
      - 2
      - 0
    .max_flat_workgroup_size: 256
    .name:           _ZN2ck27kernel_gemm_xdl_cshuffle_v3INS_28GridwiseGemm_xdl_cshuffle_v3INS_13tensor_layout4gemm8RowMajorENS3_11ColumnMajorES4_NS_9f8_fnuz_tENS_7pk_i4_tEfDF16_DF16_NS_16tensor_operation12element_wise11PassThroughESA_SA_LNS8_6device18GemmSpecializationE0ELi256ELi128ELi128ELi128ELi16ELi16ELi16ELi16ELi4ELi4ENS_8SequenceIJLi8ELi32ELi1EEEENSD_IJLi1ELi0ELi2EEEESF_Li2ELi16ELi16ELb0ELi0ENSD_IJLi4ELi64ELi1EEEESF_SF_Li2ELi16ELi16ELb0ELi0ELi1ELi1ENSD_IJLi1ELi32ELi1ELi8EEEELi4ELNS_26BlockGemmPipelineSchedulerE1ELNS_24BlockGemmPipelineVersionE1ES6_S6_Lb0ELb1ELb0ELi0ELb0EEELb1ELNS_25InMemoryDataOperationEnumE0ELi2ELNS_10TailNumberE2EEEvNT_8ArgumentE
    .private_segment_fixed_size: 0
    .sgpr_count:     0
    .sgpr_spill_count: 0
    .symbol:         _ZN2ck27kernel_gemm_xdl_cshuffle_v3INS_28GridwiseGemm_xdl_cshuffle_v3INS_13tensor_layout4gemm8RowMajorENS3_11ColumnMajorES4_NS_9f8_fnuz_tENS_7pk_i4_tEfDF16_DF16_NS_16tensor_operation12element_wise11PassThroughESA_SA_LNS8_6device18GemmSpecializationE0ELi256ELi128ELi128ELi128ELi16ELi16ELi16ELi16ELi4ELi4ENS_8SequenceIJLi8ELi32ELi1EEEENSD_IJLi1ELi0ELi2EEEESF_Li2ELi16ELi16ELb0ELi0ENSD_IJLi4ELi64ELi1EEEESF_SF_Li2ELi16ELi16ELb0ELi0ELi1ELi1ENSD_IJLi1ELi32ELi1ELi8EEEELi4ELNS_26BlockGemmPipelineSchedulerE1ELNS_24BlockGemmPipelineVersionE1ES6_S6_Lb0ELb1ELb0ELi0ELb0EEELb1ELNS_25InMemoryDataOperationEnumE0ELi2ELNS_10TailNumberE2EEEvNT_8ArgumentE.kd
    .uniform_work_group_size: 1
    .uses_dynamic_stack: false
    .vgpr_count:     0
    .vgpr_spill_count: 0
    .wavefront_size: 32
    .workgroup_processor_mode: 1
  - .args:
      - .offset:         0
        .size:           112
        .value_kind:     by_value
    .group_segment_fixed_size: 0
    .kernarg_segment_align: 8
    .kernarg_segment_size: 112
    .language:       OpenCL C
    .language_version:
      - 2
      - 0
    .max_flat_workgroup_size: 256
    .name:           _ZN2ck27kernel_gemm_xdl_cshuffle_v3INS_28GridwiseGemm_xdl_cshuffle_v3INS_13tensor_layout4gemm8RowMajorENS3_11ColumnMajorES4_NS_9f8_fnuz_tENS_7pk_i4_tEfDF16_DF16_NS_16tensor_operation12element_wise11PassThroughESA_SA_LNS8_6device18GemmSpecializationE0ELi256ELi128ELi128ELi128ELi16ELi16ELi16ELi16ELi4ELi4ENS_8SequenceIJLi8ELi32ELi1EEEENSD_IJLi1ELi0ELi2EEEESF_Li2ELi16ELi16ELb0ELi0ENSD_IJLi4ELi64ELi1EEEESF_SF_Li2ELi16ELi16ELb0ELi0ELi1ELi1ENSD_IJLi1ELi32ELi1ELi8EEEELi4ELNS_26BlockGemmPipelineSchedulerE1ELNS_24BlockGemmPipelineVersionE1ES6_S6_Lb0ELb1ELb0ELi0ELb0EEELb1ELNS_25InMemoryDataOperationEnumE0ELi2ELNS_10TailNumberE10EEEvNT_8ArgumentE
    .private_segment_fixed_size: 0
    .sgpr_count:     0
    .sgpr_spill_count: 0
    .symbol:         _ZN2ck27kernel_gemm_xdl_cshuffle_v3INS_28GridwiseGemm_xdl_cshuffle_v3INS_13tensor_layout4gemm8RowMajorENS3_11ColumnMajorES4_NS_9f8_fnuz_tENS_7pk_i4_tEfDF16_DF16_NS_16tensor_operation12element_wise11PassThroughESA_SA_LNS8_6device18GemmSpecializationE0ELi256ELi128ELi128ELi128ELi16ELi16ELi16ELi16ELi4ELi4ENS_8SequenceIJLi8ELi32ELi1EEEENSD_IJLi1ELi0ELi2EEEESF_Li2ELi16ELi16ELb0ELi0ENSD_IJLi4ELi64ELi1EEEESF_SF_Li2ELi16ELi16ELb0ELi0ELi1ELi1ENSD_IJLi1ELi32ELi1ELi8EEEELi4ELNS_26BlockGemmPipelineSchedulerE1ELNS_24BlockGemmPipelineVersionE1ES6_S6_Lb0ELb1ELb0ELi0ELb0EEELb1ELNS_25InMemoryDataOperationEnumE0ELi2ELNS_10TailNumberE10EEEvNT_8ArgumentE.kd
    .uniform_work_group_size: 1
    .uses_dynamic_stack: false
    .vgpr_count:     0
    .vgpr_spill_count: 0
    .wavefront_size: 32
    .workgroup_processor_mode: 1
  - .args:
      - .offset:         0
        .size:           112
        .value_kind:     by_value
    .group_segment_fixed_size: 24576
    .kernarg_segment_align: 8
    .kernarg_segment_size: 112
    .language:       OpenCL C
    .language_version:
      - 2
      - 0
    .max_flat_workgroup_size: 256
    .name:           _ZN2ck27kernel_gemm_xdl_cshuffle_v3INS_28GridwiseGemm_xdl_cshuffle_v3INS_13tensor_layout4gemm8RowMajorENS3_11ColumnMajorES4_NS_9f8_fnuz_tENS_7pk_i4_tEfDF16_DF16_NS_16tensor_operation12element_wise11PassThroughESA_SA_LNS8_6device18GemmSpecializationE0ELi256ELi128ELi128ELi128ELi16ELi16ELi16ELi16ELi4ELi2ENS_8SequenceIJLi8ELi32ELi1EEEENSD_IJLi1ELi0ELi2EEEESF_Li2ELi16ELi16ELb0ELi0ENSD_IJLi4ELi64ELi1EEEESF_SF_Li2ELi16ELi16ELb0ELi0ELi1ELi1ENSD_IJLi1ELi32ELi1ELi8EEEELi4ELNS_26BlockGemmPipelineSchedulerE1ELNS_24BlockGemmPipelineVersionE1ES6_S6_Lb0ELb1ELb0ELi0ELb0EEELb1ELNS_25InMemoryDataOperationEnumE1ELi2ELNS_10TailNumberE2EEEvNT_8ArgumentE
    .private_segment_fixed_size: 0
    .sgpr_count:     34
    .sgpr_spill_count: 0
    .symbol:         _ZN2ck27kernel_gemm_xdl_cshuffle_v3INS_28GridwiseGemm_xdl_cshuffle_v3INS_13tensor_layout4gemm8RowMajorENS3_11ColumnMajorES4_NS_9f8_fnuz_tENS_7pk_i4_tEfDF16_DF16_NS_16tensor_operation12element_wise11PassThroughESA_SA_LNS8_6device18GemmSpecializationE0ELi256ELi128ELi128ELi128ELi16ELi16ELi16ELi16ELi4ELi2ENS_8SequenceIJLi8ELi32ELi1EEEENSD_IJLi1ELi0ELi2EEEESF_Li2ELi16ELi16ELb0ELi0ENSD_IJLi4ELi64ELi1EEEESF_SF_Li2ELi16ELi16ELb0ELi0ELi1ELi1ENSD_IJLi1ELi32ELi1ELi8EEEELi4ELNS_26BlockGemmPipelineSchedulerE1ELNS_24BlockGemmPipelineVersionE1ES6_S6_Lb0ELb1ELb0ELi0ELb0EEELb1ELNS_25InMemoryDataOperationEnumE1ELi2ELNS_10TailNumberE2EEEvNT_8ArgumentE.kd
    .uniform_work_group_size: 1
    .uses_dynamic_stack: false
    .vgpr_count:     232
    .vgpr_spill_count: 0
    .wavefront_size: 32
    .workgroup_processor_mode: 1
  - .args:
      - .offset:         0
        .size:           112
        .value_kind:     by_value
    .group_segment_fixed_size: 24576
    .kernarg_segment_align: 8
    .kernarg_segment_size: 112
    .language:       OpenCL C
    .language_version:
      - 2
      - 0
    .max_flat_workgroup_size: 256
    .name:           _ZN2ck27kernel_gemm_xdl_cshuffle_v3INS_28GridwiseGemm_xdl_cshuffle_v3INS_13tensor_layout4gemm8RowMajorENS3_11ColumnMajorES4_NS_9f8_fnuz_tENS_7pk_i4_tEfDF16_DF16_NS_16tensor_operation12element_wise11PassThroughESA_SA_LNS8_6device18GemmSpecializationE0ELi256ELi128ELi128ELi128ELi16ELi16ELi16ELi16ELi4ELi2ENS_8SequenceIJLi8ELi32ELi1EEEENSD_IJLi1ELi0ELi2EEEESF_Li2ELi16ELi16ELb0ELi0ENSD_IJLi4ELi64ELi1EEEESF_SF_Li2ELi16ELi16ELb0ELi0ELi1ELi1ENSD_IJLi1ELi32ELi1ELi8EEEELi4ELNS_26BlockGemmPipelineSchedulerE1ELNS_24BlockGemmPipelineVersionE1ES6_S6_Lb0ELb1ELb0ELi0ELb0EEELb1ELNS_25InMemoryDataOperationEnumE1ELi2ELNS_10TailNumberE10EEEvNT_8ArgumentE
    .private_segment_fixed_size: 0
    .sgpr_count:     32
    .sgpr_spill_count: 0
    .symbol:         _ZN2ck27kernel_gemm_xdl_cshuffle_v3INS_28GridwiseGemm_xdl_cshuffle_v3INS_13tensor_layout4gemm8RowMajorENS3_11ColumnMajorES4_NS_9f8_fnuz_tENS_7pk_i4_tEfDF16_DF16_NS_16tensor_operation12element_wise11PassThroughESA_SA_LNS8_6device18GemmSpecializationE0ELi256ELi128ELi128ELi128ELi16ELi16ELi16ELi16ELi4ELi2ENS_8SequenceIJLi8ELi32ELi1EEEENSD_IJLi1ELi0ELi2EEEESF_Li2ELi16ELi16ELb0ELi0ENSD_IJLi4ELi64ELi1EEEESF_SF_Li2ELi16ELi16ELb0ELi0ELi1ELi1ENSD_IJLi1ELi32ELi1ELi8EEEELi4ELNS_26BlockGemmPipelineSchedulerE1ELNS_24BlockGemmPipelineVersionE1ES6_S6_Lb0ELb1ELb0ELi0ELb0EEELb1ELNS_25InMemoryDataOperationEnumE1ELi2ELNS_10TailNumberE10EEEvNT_8ArgumentE.kd
    .uniform_work_group_size: 1
    .uses_dynamic_stack: false
    .vgpr_count:     245
    .vgpr_spill_count: 0
    .wavefront_size: 32
    .workgroup_processor_mode: 1
  - .args:
      - .offset:         0
        .size:           112
        .value_kind:     by_value
    .group_segment_fixed_size: 24576
    .kernarg_segment_align: 8
    .kernarg_segment_size: 112
    .language:       OpenCL C
    .language_version:
      - 2
      - 0
    .max_flat_workgroup_size: 256
    .name:           _ZN2ck27kernel_gemm_xdl_cshuffle_v3INS_28GridwiseGemm_xdl_cshuffle_v3INS_13tensor_layout4gemm8RowMajorENS3_11ColumnMajorES4_NS_9f8_fnuz_tENS_7pk_i4_tEfDF16_DF16_NS_16tensor_operation12element_wise11PassThroughESA_SA_LNS8_6device18GemmSpecializationE0ELi256ELi128ELi128ELi128ELi16ELi16ELi16ELi16ELi4ELi2ENS_8SequenceIJLi8ELi32ELi1EEEENSD_IJLi1ELi0ELi2EEEESF_Li2ELi16ELi16ELb0ELi0ENSD_IJLi4ELi64ELi1EEEESF_SF_Li2ELi16ELi16ELb0ELi0ELi1ELi1ENSD_IJLi1ELi32ELi1ELi8EEEELi4ELNS_26BlockGemmPipelineSchedulerE1ELNS_24BlockGemmPipelineVersionE1ES6_S6_Lb0ELb1ELb0ELi0ELb0EEELb1ELNS_25InMemoryDataOperationEnumE0ELi2ELNS_10TailNumberE2EEEvNT_8ArgumentE
    .private_segment_fixed_size: 0
    .sgpr_count:     34
    .sgpr_spill_count: 0
    .symbol:         _ZN2ck27kernel_gemm_xdl_cshuffle_v3INS_28GridwiseGemm_xdl_cshuffle_v3INS_13tensor_layout4gemm8RowMajorENS3_11ColumnMajorES4_NS_9f8_fnuz_tENS_7pk_i4_tEfDF16_DF16_NS_16tensor_operation12element_wise11PassThroughESA_SA_LNS8_6device18GemmSpecializationE0ELi256ELi128ELi128ELi128ELi16ELi16ELi16ELi16ELi4ELi2ENS_8SequenceIJLi8ELi32ELi1EEEENSD_IJLi1ELi0ELi2EEEESF_Li2ELi16ELi16ELb0ELi0ENSD_IJLi4ELi64ELi1EEEESF_SF_Li2ELi16ELi16ELb0ELi0ELi1ELi1ENSD_IJLi1ELi32ELi1ELi8EEEELi4ELNS_26BlockGemmPipelineSchedulerE1ELNS_24BlockGemmPipelineVersionE1ES6_S6_Lb0ELb1ELb0ELi0ELb0EEELb1ELNS_25InMemoryDataOperationEnumE0ELi2ELNS_10TailNumberE2EEEvNT_8ArgumentE.kd
    .uniform_work_group_size: 1
    .uses_dynamic_stack: false
    .vgpr_count:     232
    .vgpr_spill_count: 0
    .wavefront_size: 32
    .workgroup_processor_mode: 1
  - .args:
      - .offset:         0
        .size:           112
        .value_kind:     by_value
    .group_segment_fixed_size: 24576
    .kernarg_segment_align: 8
    .kernarg_segment_size: 112
    .language:       OpenCL C
    .language_version:
      - 2
      - 0
    .max_flat_workgroup_size: 256
    .name:           _ZN2ck27kernel_gemm_xdl_cshuffle_v3INS_28GridwiseGemm_xdl_cshuffle_v3INS_13tensor_layout4gemm8RowMajorENS3_11ColumnMajorES4_NS_9f8_fnuz_tENS_7pk_i4_tEfDF16_DF16_NS_16tensor_operation12element_wise11PassThroughESA_SA_LNS8_6device18GemmSpecializationE0ELi256ELi128ELi128ELi128ELi16ELi16ELi16ELi16ELi4ELi2ENS_8SequenceIJLi8ELi32ELi1EEEENSD_IJLi1ELi0ELi2EEEESF_Li2ELi16ELi16ELb0ELi0ENSD_IJLi4ELi64ELi1EEEESF_SF_Li2ELi16ELi16ELb0ELi0ELi1ELi1ENSD_IJLi1ELi32ELi1ELi8EEEELi4ELNS_26BlockGemmPipelineSchedulerE1ELNS_24BlockGemmPipelineVersionE1ES6_S6_Lb0ELb1ELb0ELi0ELb0EEELb1ELNS_25InMemoryDataOperationEnumE0ELi2ELNS_10TailNumberE10EEEvNT_8ArgumentE
    .private_segment_fixed_size: 0
    .sgpr_count:     32
    .sgpr_spill_count: 0
    .symbol:         _ZN2ck27kernel_gemm_xdl_cshuffle_v3INS_28GridwiseGemm_xdl_cshuffle_v3INS_13tensor_layout4gemm8RowMajorENS3_11ColumnMajorES4_NS_9f8_fnuz_tENS_7pk_i4_tEfDF16_DF16_NS_16tensor_operation12element_wise11PassThroughESA_SA_LNS8_6device18GemmSpecializationE0ELi256ELi128ELi128ELi128ELi16ELi16ELi16ELi16ELi4ELi2ENS_8SequenceIJLi8ELi32ELi1EEEENSD_IJLi1ELi0ELi2EEEESF_Li2ELi16ELi16ELb0ELi0ENSD_IJLi4ELi64ELi1EEEESF_SF_Li2ELi16ELi16ELb0ELi0ELi1ELi1ENSD_IJLi1ELi32ELi1ELi8EEEELi4ELNS_26BlockGemmPipelineSchedulerE1ELNS_24BlockGemmPipelineVersionE1ES6_S6_Lb0ELb1ELb0ELi0ELb0EEELb1ELNS_25InMemoryDataOperationEnumE0ELi2ELNS_10TailNumberE10EEEvNT_8ArgumentE.kd
    .uniform_work_group_size: 1
    .uses_dynamic_stack: false
    .vgpr_count:     245
    .vgpr_spill_count: 0
    .wavefront_size: 32
    .workgroup_processor_mode: 1
amdhsa.target:   amdgcn-amd-amdhsa--gfx1201
amdhsa.version:
  - 1
  - 2
...

	.end_amdgpu_metadata
